;; amdgpu-corpus repo=zjin-lcf/HeCBench kind=compiled arch=gfx1100 opt=O3
	.text
	.amdgcn_target "amdgcn-amd-amdhsa--gfx1100"
	.amdhsa_code_object_version 6
	.protected	_Z15nbnxmKernelTestPK15HIP_vector_typeIfLj4EEPN3gmx11BasicVectorIfEES6_S6_P11nbnxn_cj4_tPK9nbnxn_sciPK12nbnxn_excl_tPKiPKS_IfLj2EEifffb ; -- Begin function _Z15nbnxmKernelTestPK15HIP_vector_typeIfLj4EEPN3gmx11BasicVectorIfEES6_S6_P11nbnxn_cj4_tPK9nbnxn_sciPK12nbnxn_excl_tPKiPKS_IfLj2EEifffb
	.globl	_Z15nbnxmKernelTestPK15HIP_vector_typeIfLj4EEPN3gmx11BasicVectorIfEES6_S6_P11nbnxn_cj4_tPK9nbnxn_sciPK12nbnxn_excl_tPKiPKS_IfLj2EEifffb
	.p2align	8
	.type	_Z15nbnxmKernelTestPK15HIP_vector_typeIfLj4EEPN3gmx11BasicVectorIfEES6_S6_P11nbnxn_cj4_tPK9nbnxn_sciPK12nbnxn_excl_tPKiPKS_IfLj2EEifffb,@function
_Z15nbnxmKernelTestPK15HIP_vector_typeIfLj4EEPN3gmx11BasicVectorIfEES6_S6_P11nbnxn_cj4_tPK9nbnxn_sciPK12nbnxn_excl_tPKiPKS_IfLj2EEifffb: ; @_Z15nbnxmKernelTestPK15HIP_vector_typeIfLj4EEPN3gmx11BasicVectorIfEES6_S6_P11nbnxn_cj4_tPK9nbnxn_sciPK12nbnxn_excl_tPKiPKS_IfLj2EEifffb
; %bb.0:
	s_clause 0x2
	s_load_b64 s[2:3], s[0:1], 0x28
	s_load_b64 s[28:29], s[0:1], 0x38
	s_load_b32 s36, s[0:1], 0x58
	s_mov_b32 s16, s15
	s_mov_b32 s17, 0
	v_bfe_u32 v36, v0, 10, 10
	s_lshl_b64 s[4:5], s[16:17], 4
	s_mov_b32 s16, s17
	s_mov_b32 s18, s17
	;; [unrolled: 1-line block ×7, first 2 shown]
	v_and_b32_e32 v37, 0x3ff, v0
	s_load_b256 s[8:15], s[0:1], 0x0
	s_delay_alu instid0(VALU_DEP_1)
	v_lshl_add_u32 v38, v36, 3, v37
	s_waitcnt lgkmcnt(0)
	s_add_u32 s2, s2, s4
	s_addc_u32 s3, s3, s5
	s_load_b128 s[4:7], s[2:3], 0x0
	s_waitcnt lgkmcnt(0)
	s_lshl_b32 s35, s4, 6
	s_mul_i32 s34, s5, 12
	v_add_nc_u32_e32 v0, s35, v38
	s_mul_hi_i32 s33, s5, 12
	s_add_u32 s2, s12, s34
	s_addc_u32 s3, s13, s33
	s_cmp_lg_u32 s5, 22
	v_ashrrev_i32_e32 v1, 31, v0
	s_cselect_b32 s5, -1, 0
	s_cmp_ge_i32 s6, s7
	s_delay_alu instid0(VALU_DEP_1) | instskip(SKIP_1) | instid1(VALU_DEP_2)
	v_lshlrev_b64 v[2:3], 4, v[0:1]
	v_lshlrev_b64 v[0:1], 2, v[0:1]
	v_add_co_u32 v2, vcc_lo, s8, v2
	s_delay_alu instid0(VALU_DEP_3) | instskip(NEXT) | instid1(VALU_DEP_3)
	v_add_co_ci_u32_e32 v3, vcc_lo, s9, v3, vcc_lo
	v_add_co_u32 v0, vcc_lo, s28, v0
	s_delay_alu instid0(VALU_DEP_4)
	v_add_co_ci_u32_e32 v1, vcc_lo, s29, v1, vcc_lo
	global_load_b128 v[16:19], v[2:3], off
	global_load_b32 v28, v[0:1], off
	s_clause 0x1
	s_load_b64 s[12:13], s[2:3], 0x0
	s_load_b32 s2, s[2:3], 0x8
	s_load_b128 s[24:27], s[0:1], 0x48
	v_dual_mov_b32 v0, s16 :: v_dual_mov_b32 v1, s17
	v_dual_mov_b32 v6, s22 :: v_dual_mov_b32 v7, s23
	;; [unrolled: 1-line block ×4, first 2 shown]
	v_lshlrev_b32_e32 v29, 4, v38
	s_delay_alu instid0(VALU_DEP_4) | instskip(SKIP_1) | instid1(VALU_DEP_4)
	v_mov_b32_e32 v15, v7
	v_dual_mov_b32 v9, v1 :: v_dual_mov_b32 v14, v6
	v_dual_mov_b32 v13, v5 :: v_dual_mov_b32 v10, v2
	;; [unrolled: 1-line block ×3, first 2 shown]
	v_mov_b32_e32 v8, v0
	v_mad_i32_i24 v30, v38, -12, v29
	s_waitcnt vmcnt(1) lgkmcnt(0)
	v_dual_add_f32 v19, 0, v19 :: v_dual_add_f32 v26, s2, v18
	v_dual_add_f32 v24, s12, v16 :: v_dual_add_f32 v25, s13, v17
	s_delay_alu instid0(VALU_DEP_2)
	v_mul_f32_e32 v27, s27, v19
	v_dual_mov_b32 v23, v7 :: v_dual_mov_b32 v18, v2
	v_dual_mov_b32 v22, v6 :: v_dual_mov_b32 v21, v5
	v_mov_b32_e32 v16, v0
	v_dual_mov_b32 v20, v4 :: v_dual_mov_b32 v19, v3
	v_mov_b32_e32 v17, v1
	ds_store_b128 v29, v[24:27]
	s_waitcnt vmcnt(0)
	ds_store_b32 v30, v28 offset:1792
	s_waitcnt lgkmcnt(0)
	s_barrier
	buffer_gl0_inv
	s_cbranch_scc1 .LBB0_60
; %bb.1:
	s_clause 0x2
	s_load_b64 s[38:39], s[0:1], 0x30
	s_load_b64 s[12:13], s[0:1], 0x40
	;; [unrolled: 1-line block ×3, first 2 shown]
	v_mul_f32_e64 v39, s26, s26
	v_and_b32_e32 v0, 31, v38
	v_and_b32_e32 v1, 1, v37
	;; [unrolled: 1-line block ×3, first 2 shown]
	v_lshlrev_b32_e32 v3, 2, v37
	s_delay_alu instid0(VALU_DEP_4)
	v_dual_mul_f32 v41, s26, v39 :: v_dual_lshlrev_b32 v0, 2, v0
	v_lshlrev_b32_e32 v40, 4, v37
	s_lshl_b32 s27, s4, 3
	v_cmp_eq_u32_e64 s2, 0, v1
	v_cmp_eq_u32_e64 s3, 0, v2
	v_add_nc_u32_e32 v45, 0x700, v3
	v_lshrrev_b32_e32 v8, 5, v38
	v_mul_u32_u24_e32 v9, 12, v37
	v_cmp_gt_u32_e64 s0, v36, v37
	v_cmp_gt_u32_e64 s1, 3, v37
	v_mbcnt_lo_u32_b32 v48, -1, 0
	s_waitcnt lgkmcnt(0)
	v_add_co_u32 v42, s4, s38, v0
	s_delay_alu instid0(VALU_DEP_1)
	v_add_co_ci_u32_e64 v43, null, s39, 0, s4
	v_add_co_u32 v32, s4, s10, v3
	v_dual_mov_b32 v0, s16 :: v_dual_mov_b32 v3, s19
	v_mad_i32_i24 v44, v37, -12, v40
	v_dual_mov_b32 v6, s22 :: v_dual_mov_b32 v7, s23
	v_dual_mov_b32 v1, s17 :: v_dual_mov_b32 v2, s18
	;; [unrolled: 1-line block ×3, first 2 shown]
	v_lshlrev_b32_e32 v46, 3, v8
	v_add_nc_u32_e32 v47, v44, v9
	v_dual_mov_b32 v15, v7 :: v_dual_mov_b32 v14, v6
	v_dual_mov_b32 v23, v7 :: v_dual_mov_b32 v22, v6
	v_add_co_ci_u32_e64 v33, null, s11, 0, s4
	v_dual_mov_b32 v13, v5 :: v_dual_mov_b32 v12, v4
	v_dual_mov_b32 v11, v3 :: v_dual_mov_b32 v10, v2
	v_dual_mov_b32 v9, v1 :: v_dual_mov_b32 v8, v0
	v_dual_mov_b32 v21, v5 :: v_dual_mov_b32 v20, v4
	v_dual_mov_b32 v19, v3 :: v_dual_mov_b32 v18, v2
	v_dual_mov_b32 v17, v1 :: v_dual_mov_b32 v16, v0
	s_or_b32 s26, s27, 1
	s_or_b32 s37, s27, 2
	;; [unrolled: 1-line block ×7, first 2 shown]
	s_mov_b32 s22, 0x3a92b707
	s_mov_b32 s23, 0x3c739487
	;; [unrolled: 1-line block ×5, first 2 shown]
	s_branch .LBB0_3
.LBB0_2:                                ;   in Loop: Header=BB0_3 Depth=1
	s_or_b32 exec_lo, exec_lo, s6
	s_add_i32 s18, s18, 1
	s_delay_alu instid0(SALU_CYCLE_1)
	s_cmp_ge_i32 s18, s7
	s_cbranch_scc1 .LBB0_60
.LBB0_3:                                ; =>This Loop Header: Depth=1
                                        ;     Child Loop BB0_7 Depth 2
                                        ;       Child Loop BB0_58 Depth 3
	s_ashr_i32 s19, s18, 31
	s_mov_b32 s6, exec_lo
	s_lshl_b64 s[20:21], s[18:19], 5
	s_delay_alu instid0(SALU_CYCLE_1)
	s_add_u32 s20, s30, s20
	s_addc_u32 s21, s31, s21
	global_load_b32 v49, v46, s[20:21] offset:16
	s_waitcnt vmcnt(0)
	v_cmpx_ne_u32_e32 0, v49
	s_cbranch_execz .LBB0_2
; %bb.4:                                ;   in Loop: Header=BB0_3 Depth=1
	v_add_co_u32 v24, s4, s20, v46
	s_delay_alu instid0(VALU_DEP_1) | instskip(SKIP_4) | instid1(VALU_DEP_1)
	v_add_co_ci_u32_e64 v25, null, s21, 0, s4
	s_mov_b32 s16, 0
	global_load_b32 v24, v[24:25], off offset:20
	s_waitcnt vmcnt(0)
	v_ashrrev_i32_e32 v25, 31, v24
	v_lshlrev_b64 v[24:25], 7, v[24:25]
	s_delay_alu instid0(VALU_DEP_1) | instskip(NEXT) | instid1(VALU_DEP_2)
	v_add_co_u32 v24, vcc_lo, v42, v24
	v_add_co_ci_u32_e32 v25, vcc_lo, v43, v25, vcc_lo
	global_load_b32 v50, v[24:25], off
	s_branch .LBB0_7
.LBB0_5:                                ;   in Loop: Header=BB0_7 Depth=2
	s_or_b32 exec_lo, exec_lo, s4
.LBB0_6:                                ;   in Loop: Header=BB0_7 Depth=2
	s_delay_alu instid0(SALU_CYCLE_1) | instskip(SKIP_1) | instid1(SALU_CYCLE_1)
	s_or_b32 exec_lo, exec_lo, s19
	s_add_i32 s16, s16, 1
	s_cmp_lg_u32 s16, 4
	s_cbranch_scc0 .LBB0_2
.LBB0_7:                                ;   Parent Loop BB0_3 Depth=1
                                        ; =>  This Loop Header: Depth=2
                                        ;       Child Loop BB0_58 Depth 3
	s_lshl_b32 s46, s16, 3
	s_mov_b32 s19, exec_lo
	v_bfe_u32 v24, v49, s46, 8
	s_delay_alu instid0(VALU_DEP_1)
	v_cmpx_ne_u32_e32 0, v24
	s_cbranch_execz .LBB0_6
; %bb.8:                                ;   in Loop: Header=BB0_7 Depth=2
	s_lshl_b64 s[48:49], s[16:17], 2
	s_lshl_b32 s4, 1, s46
	s_add_u32 s48, s20, s48
	s_addc_u32 s49, s21, s49
	v_dual_mov_b32 v52, 0 :: v_dual_mov_b32 v51, 0
	s_load_b32 s45, s[48:49], 0x0
	s_mov_b32 s47, exec_lo
	v_mov_b32_e32 v53, 0
	s_waitcnt lgkmcnt(0)
	v_lshl_add_u32 v34, s45, 3, v36
	s_waitcnt vmcnt(0)
	s_delay_alu instid0(VALU_DEP_1) | instskip(NEXT) | instid1(VALU_DEP_1)
	v_ashrrev_i32_e32 v35, 31, v34
	v_lshlrev_b64 v[24:25], 4, v[34:35]
	v_lshlrev_b64 v[26:27], 2, v[34:35]
	s_delay_alu instid0(VALU_DEP_2) | instskip(NEXT) | instid1(VALU_DEP_3)
	v_add_co_u32 v24, vcc_lo, s8, v24
	v_add_co_ci_u32_e32 v25, vcc_lo, s9, v25, vcc_lo
	s_delay_alu instid0(VALU_DEP_3) | instskip(NEXT) | instid1(VALU_DEP_4)
	v_add_co_u32 v28, vcc_lo, s28, v26
	v_add_co_ci_u32_e32 v29, vcc_lo, s29, v27, vcc_lo
	global_load_b128 v[24:27], v[24:25], off
	global_load_b32 v35, v[28:29], off
	v_and_b32_e32 v28, s4, v49
	s_delay_alu instid0(VALU_DEP_1)
	v_cmpx_ne_u32_e32 0, v28
	s_cbranch_execz .LBB0_14
; %bb.9:                                ;   in Loop: Header=BB0_7 Depth=2
	ds_load_b128 v[28:31], v40
	v_mov_b32_e32 v51, 0
	v_mov_b32_e32 v53, 0
	s_mov_b32 s48, exec_lo
	s_waitcnt vmcnt(1) lgkmcnt(0)
	v_dual_mov_b32 v52, 0 :: v_dual_sub_f32 v29, v29, v25
	v_sub_f32_e32 v54, v28, v24
	s_delay_alu instid0(VALU_DEP_2) | instskip(NEXT) | instid1(VALU_DEP_1)
	v_dual_sub_f32 v28, v30, v26 :: v_dual_mul_f32 v55, v29, v29
	v_fmac_f32_e32 v55, v54, v54
	s_delay_alu instid0(VALU_DEP_1) | instskip(NEXT) | instid1(VALU_DEP_1)
	v_fmac_f32_e32 v55, v28, v28
	v_cmpx_gt_f32_e32 s25, v55
	s_cbranch_execz .LBB0_13
; %bb.10:                               ;   in Loop: Header=BB0_7 Depth=2
	s_cmp_lg_u32 s27, s45
	v_dual_mov_b32 v51, 0 :: v_dual_mov_b32 v52, 0
	s_cselect_b32 s49, -1, 0
	v_mov_b32_e32 v53, 0
	s_or_b32 s49, s0, s49
	s_delay_alu instid0(SALU_CYCLE_1) | instskip(NEXT) | instid1(SALU_CYCLE_1)
	s_or_b32 s50, s5, s49
	s_and_saveexec_b32 s49, s50
	s_cbranch_execz .LBB0_12
; %bb.11:                               ;   in Loop: Header=BB0_7 Depth=2
	ds_load_b32 v30, v44 offset:1792
	v_mul_f32_e32 v31, v27, v31
	s_waitcnt vmcnt(0) lgkmcnt(0)
	v_mad_u64_u32 v[51:52], null, v30, s24, v[35:36]
	v_max_f32_e32 v30, v55, v55
	s_delay_alu instid0(VALU_DEP_1) | instskip(NEXT) | instid1(VALU_DEP_3)
	v_max_f32_e32 v30, 0x34cd15ae, v30
	v_ashrrev_i32_e32 v52, 31, v51
	s_delay_alu instid0(VALU_DEP_2) | instskip(NEXT) | instid1(VALU_DEP_2)
	v_mul_f32_e32 v53, v39, v30
	v_lshlrev_b64 v[51:52], 3, v[51:52]
	v_rsq_f32_e32 v30, v30
	s_delay_alu instid0(VALU_DEP_2) | instskip(NEXT) | instid1(VALU_DEP_2)
	v_mul_f32_e32 v55, v53, v53
	v_add_co_u32 v51, vcc_lo, s12, v51
	s_delay_alu instid0(VALU_DEP_3) | instskip(NEXT) | instid1(VALU_DEP_3)
	v_add_co_ci_u32_e32 v52, vcc_lo, s13, v52, vcc_lo
	v_fmaak_f32 v56, s22, v55, 0x3ded3cb2
	s_waitcnt_depctr 0xfff
	v_dual_fmaak_f32 v57, s23, v55, 0x3f01e2bc :: v_dual_mul_f32 v64, v30, v30
	v_fmaak_f32 v65, s44, v55, 0x3a83ca0c
	global_load_b64 v[51:52], v[51:52], off
	v_fma_f32 v56, v55, v56, 1.0
	s_delay_alu instid0(VALU_DEP_1) | instskip(NEXT) | instid1(VALU_DEP_1)
	v_dual_fmac_f32 v56, v53, v57 :: v_dual_and_b32 v63, s4, v50
	v_div_scale_f32 v57, null, v56, v56, 1.0
	v_div_scale_f32 v60, vcc_lo, 1.0, v56, 1.0
	s_delay_alu instid0(VALU_DEP_2) | instskip(SKIP_2) | instid1(VALU_DEP_1)
	v_rcp_f32_e32 v58, v57
	s_waitcnt_depctr 0xfff
	v_fma_f32 v59, -v57, v58, 1.0
	v_fmac_f32_e32 v58, v59, v58
	s_delay_alu instid0(VALU_DEP_1) | instskip(NEXT) | instid1(VALU_DEP_1)
	v_mul_f32_e32 v59, v60, v58
	v_fma_f32 v61, -v57, v59, v60
	s_delay_alu instid0(VALU_DEP_1) | instskip(NEXT) | instid1(VALU_DEP_1)
	v_dual_fmaak_f32 v62, s43, v55, 0xb85ffb93 :: v_dual_fmac_f32 v59, v61, v58
	v_fma_f32 v57, -v57, v59, v60
	v_fmaak_f32 v60, v55, v65, 0x3d8eaf3b
	v_cmp_eq_u32_e64 s4, 0, v63
	v_mul_f32_e32 v63, v64, v64
	v_fmaak_f32 v61, v55, v62, 0xbc9ded90
	v_div_fmas_f32 v57, v57, v58, v59
	s_delay_alu instid0(VALU_DEP_4) | instskip(NEXT) | instid1(VALU_DEP_3)
	v_cndmask_b32_e64 v62, 1.0, 0, s4
	v_dual_mul_f32 v58, v64, v63 :: v_dual_fmaak_f32 v55, v55, v61, 0xbf409397
	s_delay_alu instid0(VALU_DEP_1) | instskip(NEXT) | instid1(VALU_DEP_4)
	v_fmac_f32_e32 v55, v53, v60
	v_div_fixup_f32 v53, v57, v56, 1.0
	s_delay_alu instid0(VALU_DEP_1) | instskip(SKIP_1) | instid1(VALU_DEP_1)
	v_dual_mul_f32 v56, v62, v58 :: v_dual_mul_f32 v53, v53, v55
	s_waitcnt vmcnt(0)
	v_fma_f32 v51, v56, v52, -v51
	s_delay_alu instid0(VALU_DEP_2) | instskip(NEXT) | instid1(VALU_DEP_1)
	v_dual_mul_f32 v52, v62, v64 :: v_dual_mul_f32 v53, v41, v53
	v_fmac_f32_e32 v53, v30, v52
	s_delay_alu instid0(VALU_DEP_3) | instskip(NEXT) | instid1(VALU_DEP_1)
	v_mul_f32_e32 v51, v56, v51
	v_mul_f32_e32 v30, v64, v51
	s_delay_alu instid0(VALU_DEP_1) | instskip(NEXT) | instid1(VALU_DEP_1)
	v_fmac_f32_e32 v30, v31, v53
	v_fma_f32 v53, -v54, v30, 0
	v_fma_f32 v52, -v29, v30, 0
	;; [unrolled: 1-line block ×3, first 2 shown]
	v_fma_f32 v0, v54, v30, v0
	v_fma_f32 v8, v29, v30, v8
	;; [unrolled: 1-line block ×3, first 2 shown]
.LBB0_12:                               ;   in Loop: Header=BB0_7 Depth=2
	s_or_b32 exec_lo, exec_lo, s49
.LBB0_13:                               ;   in Loop: Header=BB0_7 Depth=2
	s_delay_alu instid0(SALU_CYCLE_1)
	s_or_b32 exec_lo, exec_lo, s48
.LBB0_14:                               ;   in Loop: Header=BB0_7 Depth=2
	s_delay_alu instid0(SALU_CYCLE_1) | instskip(SKIP_3) | instid1(VALU_DEP_1)
	s_or_b32 exec_lo, exec_lo, s47
	s_lshl_b32 s4, 2, s46
	s_mov_b32 s47, exec_lo
	v_and_b32_e32 v28, s4, v49
	v_cmpx_ne_u32_e32 0, v28
	s_cbranch_execz .LBB0_20
; %bb.15:                               ;   in Loop: Header=BB0_7 Depth=2
	ds_load_b128 v[28:31], v47 offset:128
	s_mov_b32 s48, exec_lo
	s_waitcnt vmcnt(1) lgkmcnt(0)
	v_dual_sub_f32 v29, v29, v25 :: v_dual_sub_f32 v54, v28, v24
	s_delay_alu instid0(VALU_DEP_1) | instskip(NEXT) | instid1(VALU_DEP_1)
	v_dual_sub_f32 v28, v30, v26 :: v_dual_mul_f32 v55, v29, v29
	v_fmac_f32_e32 v55, v54, v54
	s_delay_alu instid0(VALU_DEP_1) | instskip(NEXT) | instid1(VALU_DEP_1)
	v_fmac_f32_e32 v55, v28, v28
	v_cmpx_gt_f32_e32 s25, v55
	s_cbranch_execz .LBB0_19
; %bb.16:                               ;   in Loop: Header=BB0_7 Depth=2
	s_cmp_lg_u32 s26, s45
	s_cselect_b32 s49, -1, 0
	s_delay_alu instid0(SALU_CYCLE_1) | instskip(NEXT) | instid1(SALU_CYCLE_1)
	s_or_b32 s49, s0, s49
	s_or_b32 s50, s5, s49
	s_delay_alu instid0(SALU_CYCLE_1)
	s_and_saveexec_b32 s49, s50
	s_cbranch_execz .LBB0_18
; %bb.17:                               ;   in Loop: Header=BB0_7 Depth=2
	ds_load_b32 v30, v45 offset:32
	v_mul_f32_e32 v31, v27, v31
	s_waitcnt vmcnt(0) lgkmcnt(0)
	v_mad_u64_u32 v[56:57], null, v30, s24, v[35:36]
	v_max_f32_e32 v30, v55, v55
	s_delay_alu instid0(VALU_DEP_1) | instskip(NEXT) | instid1(VALU_DEP_3)
	v_max_f32_e32 v30, 0x34cd15ae, v30
	v_ashrrev_i32_e32 v57, 31, v56
	s_delay_alu instid0(VALU_DEP_2) | instskip(NEXT) | instid1(VALU_DEP_2)
	v_mul_f32_e32 v55, v39, v30
	v_lshlrev_b64 v[56:57], 3, v[56:57]
	s_delay_alu instid0(VALU_DEP_2) | instskip(NEXT) | instid1(VALU_DEP_2)
	v_mul_f32_e32 v58, v55, v55
	v_add_co_u32 v56, vcc_lo, s12, v56
	s_delay_alu instid0(VALU_DEP_3) | instskip(NEXT) | instid1(VALU_DEP_3)
	v_add_co_ci_u32_e32 v57, vcc_lo, s13, v57, vcc_lo
	v_fmaak_f32 v59, s22, v58, 0x3ded3cb2
	v_fmaak_f32 v60, s23, v58, 0x3f01e2bc
	global_load_b64 v[56:57], v[56:57], off
	v_fma_f32 v59, v58, v59, 1.0
	s_delay_alu instid0(VALU_DEP_1) | instskip(SKIP_1) | instid1(VALU_DEP_1)
	v_fmac_f32_e32 v59, v55, v60
	v_rsq_f32_e32 v30, v30
	v_div_scale_f32 v60, null, v59, v59, 1.0
	v_div_scale_f32 v63, vcc_lo, 1.0, v59, 1.0
	s_delay_alu instid0(VALU_DEP_2) | instskip(SKIP_2) | instid1(VALU_DEP_1)
	v_rcp_f32_e32 v61, v60
	s_waitcnt_depctr 0xfff
	v_fma_f32 v62, -v60, v61, 1.0
	v_dual_fmac_f32 v61, v62, v61 :: v_dual_fmaak_f32 v68, s44, v58, 0x3a83ca0c
	v_fmaak_f32 v65, s43, v58, 0xb85ffb93
	v_and_b32_e32 v66, s4, v50
	s_delay_alu instid0(VALU_DEP_3) | instskip(NEXT) | instid1(VALU_DEP_1)
	v_mul_f32_e32 v62, v63, v61
	v_fma_f32 v64, -v60, v62, v63
	s_delay_alu instid0(VALU_DEP_1) | instskip(SKIP_1) | instid1(VALU_DEP_2)
	v_fmac_f32_e32 v62, v64, v61
	v_fmaak_f32 v64, v58, v65, 0xbc9ded90
	v_fma_f32 v60, -v60, v62, v63
	v_fmaak_f32 v63, v58, v68, 0x3d8eaf3b
	s_delay_alu instid0(VALU_DEP_3) | instskip(SKIP_3) | instid1(VALU_DEP_4)
	v_fmaak_f32 v58, v58, v64, 0xbf409397
	v_mul_f32_e32 v67, v30, v30
	v_cmp_eq_u32_e64 s4, 0, v66
	v_div_fmas_f32 v60, v60, v61, v62
	v_fmac_f32_e32 v58, v55, v63
	s_delay_alu instid0(VALU_DEP_3) | instskip(NEXT) | instid1(VALU_DEP_3)
	v_cndmask_b32_e64 v65, 1.0, 0, s4
	v_div_fixup_f32 v55, v60, v59, 1.0
	s_delay_alu instid0(VALU_DEP_1) | instskip(NEXT) | instid1(VALU_DEP_1)
	v_mul_f32_e32 v55, v55, v58
	v_mul_f32_e32 v55, v41, v55
	;; [unrolled: 1-line block ×3, first 2 shown]
	s_delay_alu instid0(VALU_DEP_1) | instskip(NEXT) | instid1(VALU_DEP_1)
	v_mul_f32_e32 v61, v67, v66
	v_mul_f32_e32 v59, v65, v61
	s_waitcnt vmcnt(0)
	s_delay_alu instid0(VALU_DEP_1) | instskip(NEXT) | instid1(VALU_DEP_1)
	v_fma_f32 v56, v59, v57, -v56
	v_dual_mul_f32 v57, v65, v67 :: v_dual_mul_f32 v56, v59, v56
	s_delay_alu instid0(VALU_DEP_1) | instskip(NEXT) | instid1(VALU_DEP_1)
	v_dual_fmac_f32 v55, v30, v57 :: v_dual_mul_f32 v30, v67, v56
	v_fmac_f32_e32 v30, v31, v55
	s_delay_alu instid0(VALU_DEP_1)
	v_fma_f32 v53, -v54, v30, v53
	v_fma_f32 v52, -v29, v30, v52
	;; [unrolled: 1-line block ×3, first 2 shown]
	v_fma_f32 v1, v54, v30, v1
	v_fma_f32 v9, v29, v30, v9
	v_fma_f32 v17, v28, v30, v17
.LBB0_18:                               ;   in Loop: Header=BB0_7 Depth=2
	s_or_b32 exec_lo, exec_lo, s49
.LBB0_19:                               ;   in Loop: Header=BB0_7 Depth=2
	s_delay_alu instid0(SALU_CYCLE_1)
	s_or_b32 exec_lo, exec_lo, s48
.LBB0_20:                               ;   in Loop: Header=BB0_7 Depth=2
	s_delay_alu instid0(SALU_CYCLE_1) | instskip(SKIP_3) | instid1(VALU_DEP_1)
	s_or_b32 exec_lo, exec_lo, s47
	s_lshl_b32 s4, 4, s46
	s_mov_b32 s47, exec_lo
	v_and_b32_e32 v28, s4, v49
	v_cmpx_ne_u32_e32 0, v28
	s_cbranch_execz .LBB0_26
; %bb.21:                               ;   in Loop: Header=BB0_7 Depth=2
	ds_load_b128 v[28:31], v47 offset:256
	s_mov_b32 s48, exec_lo
	s_waitcnt vmcnt(1) lgkmcnt(0)
	v_dual_sub_f32 v29, v29, v25 :: v_dual_sub_f32 v54, v28, v24
	s_delay_alu instid0(VALU_DEP_1) | instskip(NEXT) | instid1(VALU_DEP_1)
	v_dual_sub_f32 v28, v30, v26 :: v_dual_mul_f32 v55, v29, v29
	v_fmac_f32_e32 v55, v54, v54
	s_delay_alu instid0(VALU_DEP_1) | instskip(NEXT) | instid1(VALU_DEP_1)
	v_fmac_f32_e32 v55, v28, v28
	v_cmpx_gt_f32_e32 s25, v55
	s_cbranch_execz .LBB0_25
; %bb.22:                               ;   in Loop: Header=BB0_7 Depth=2
	s_cmp_lg_u32 s37, s45
	s_cselect_b32 s49, -1, 0
	s_delay_alu instid0(SALU_CYCLE_1) | instskip(NEXT) | instid1(SALU_CYCLE_1)
	s_or_b32 s49, s0, s49
	s_or_b32 s50, s5, s49
	s_delay_alu instid0(SALU_CYCLE_1)
	s_and_saveexec_b32 s49, s50
	s_cbranch_execz .LBB0_24
; %bb.23:                               ;   in Loop: Header=BB0_7 Depth=2
	ds_load_b32 v30, v45 offset:64
	v_mul_f32_e32 v31, v27, v31
	s_waitcnt vmcnt(0) lgkmcnt(0)
	v_mad_u64_u32 v[56:57], null, v30, s24, v[35:36]
	v_max_f32_e32 v30, v55, v55
	s_delay_alu instid0(VALU_DEP_1) | instskip(NEXT) | instid1(VALU_DEP_3)
	v_max_f32_e32 v30, 0x34cd15ae, v30
	v_ashrrev_i32_e32 v57, 31, v56
	s_delay_alu instid0(VALU_DEP_2) | instskip(NEXT) | instid1(VALU_DEP_2)
	v_mul_f32_e32 v55, v39, v30
	v_lshlrev_b64 v[56:57], 3, v[56:57]
	s_delay_alu instid0(VALU_DEP_2) | instskip(NEXT) | instid1(VALU_DEP_2)
	v_mul_f32_e32 v58, v55, v55
	v_add_co_u32 v56, vcc_lo, s12, v56
	s_delay_alu instid0(VALU_DEP_3) | instskip(NEXT) | instid1(VALU_DEP_3)
	v_add_co_ci_u32_e32 v57, vcc_lo, s13, v57, vcc_lo
	v_fmaak_f32 v59, s22, v58, 0x3ded3cb2
	v_fmaak_f32 v60, s23, v58, 0x3f01e2bc
	global_load_b64 v[56:57], v[56:57], off
	v_fma_f32 v59, v58, v59, 1.0
	s_delay_alu instid0(VALU_DEP_1) | instskip(SKIP_1) | instid1(VALU_DEP_1)
	v_fmac_f32_e32 v59, v55, v60
	v_rsq_f32_e32 v30, v30
	v_div_scale_f32 v60, null, v59, v59, 1.0
	v_div_scale_f32 v63, vcc_lo, 1.0, v59, 1.0
	s_delay_alu instid0(VALU_DEP_2) | instskip(SKIP_2) | instid1(VALU_DEP_1)
	v_rcp_f32_e32 v61, v60
	s_waitcnt_depctr 0xfff
	v_fma_f32 v62, -v60, v61, 1.0
	v_dual_fmac_f32 v61, v62, v61 :: v_dual_fmaak_f32 v68, s44, v58, 0x3a83ca0c
	v_fmaak_f32 v65, s43, v58, 0xb85ffb93
	v_and_b32_e32 v66, s4, v50
	s_delay_alu instid0(VALU_DEP_3) | instskip(NEXT) | instid1(VALU_DEP_1)
	v_mul_f32_e32 v62, v63, v61
	v_fma_f32 v64, -v60, v62, v63
	s_delay_alu instid0(VALU_DEP_1) | instskip(SKIP_1) | instid1(VALU_DEP_2)
	v_fmac_f32_e32 v62, v64, v61
	v_fmaak_f32 v64, v58, v65, 0xbc9ded90
	v_fma_f32 v60, -v60, v62, v63
	v_fmaak_f32 v63, v58, v68, 0x3d8eaf3b
	s_delay_alu instid0(VALU_DEP_3) | instskip(SKIP_3) | instid1(VALU_DEP_4)
	v_fmaak_f32 v58, v58, v64, 0xbf409397
	v_mul_f32_e32 v67, v30, v30
	v_cmp_eq_u32_e64 s4, 0, v66
	v_div_fmas_f32 v60, v60, v61, v62
	v_fmac_f32_e32 v58, v55, v63
	s_delay_alu instid0(VALU_DEP_3) | instskip(NEXT) | instid1(VALU_DEP_3)
	v_cndmask_b32_e64 v65, 1.0, 0, s4
	v_div_fixup_f32 v55, v60, v59, 1.0
	s_delay_alu instid0(VALU_DEP_1) | instskip(NEXT) | instid1(VALU_DEP_1)
	v_mul_f32_e32 v55, v55, v58
	v_mul_f32_e32 v55, v41, v55
	;; [unrolled: 1-line block ×3, first 2 shown]
	s_delay_alu instid0(VALU_DEP_1) | instskip(NEXT) | instid1(VALU_DEP_1)
	v_mul_f32_e32 v61, v67, v66
	v_mul_f32_e32 v59, v65, v61
	s_waitcnt vmcnt(0)
	s_delay_alu instid0(VALU_DEP_1) | instskip(NEXT) | instid1(VALU_DEP_1)
	v_fma_f32 v56, v59, v57, -v56
	v_dual_mul_f32 v57, v65, v67 :: v_dual_mul_f32 v56, v59, v56
	s_delay_alu instid0(VALU_DEP_1) | instskip(NEXT) | instid1(VALU_DEP_1)
	v_dual_fmac_f32 v55, v30, v57 :: v_dual_mul_f32 v30, v67, v56
	v_fmac_f32_e32 v30, v31, v55
	s_delay_alu instid0(VALU_DEP_1)
	v_fma_f32 v53, -v54, v30, v53
	v_fma_f32 v52, -v29, v30, v52
	;; [unrolled: 1-line block ×3, first 2 shown]
	v_fma_f32 v2, v54, v30, v2
	v_fma_f32 v10, v29, v30, v10
	;; [unrolled: 1-line block ×3, first 2 shown]
.LBB0_24:                               ;   in Loop: Header=BB0_7 Depth=2
	s_or_b32 exec_lo, exec_lo, s49
.LBB0_25:                               ;   in Loop: Header=BB0_7 Depth=2
	s_delay_alu instid0(SALU_CYCLE_1)
	s_or_b32 exec_lo, exec_lo, s48
.LBB0_26:                               ;   in Loop: Header=BB0_7 Depth=2
	s_delay_alu instid0(SALU_CYCLE_1) | instskip(SKIP_3) | instid1(VALU_DEP_1)
	s_or_b32 exec_lo, exec_lo, s47
	s_lshl_b32 s4, 8, s46
	s_mov_b32 s47, exec_lo
	v_and_b32_e32 v28, s4, v49
	v_cmpx_ne_u32_e32 0, v28
	s_cbranch_execz .LBB0_32
; %bb.27:                               ;   in Loop: Header=BB0_7 Depth=2
	ds_load_b128 v[28:31], v47 offset:384
	s_mov_b32 s48, exec_lo
	s_waitcnt vmcnt(1) lgkmcnt(0)
	v_dual_sub_f32 v29, v29, v25 :: v_dual_sub_f32 v54, v28, v24
	s_delay_alu instid0(VALU_DEP_1) | instskip(NEXT) | instid1(VALU_DEP_1)
	v_dual_sub_f32 v28, v30, v26 :: v_dual_mul_f32 v55, v29, v29
	v_fmac_f32_e32 v55, v54, v54
	s_delay_alu instid0(VALU_DEP_1) | instskip(NEXT) | instid1(VALU_DEP_1)
	v_fmac_f32_e32 v55, v28, v28
	v_cmpx_gt_f32_e32 s25, v55
	s_cbranch_execz .LBB0_31
; %bb.28:                               ;   in Loop: Header=BB0_7 Depth=2
	s_cmp_lg_u32 s38, s45
	s_cselect_b32 s49, -1, 0
	s_delay_alu instid0(SALU_CYCLE_1) | instskip(NEXT) | instid1(SALU_CYCLE_1)
	s_or_b32 s49, s0, s49
	s_or_b32 s50, s5, s49
	s_delay_alu instid0(SALU_CYCLE_1)
	s_and_saveexec_b32 s49, s50
	s_cbranch_execz .LBB0_30
; %bb.29:                               ;   in Loop: Header=BB0_7 Depth=2
	ds_load_b32 v30, v45 offset:96
	v_mul_f32_e32 v31, v27, v31
	s_waitcnt vmcnt(0) lgkmcnt(0)
	v_mad_u64_u32 v[56:57], null, v30, s24, v[35:36]
	v_max_f32_e32 v30, v55, v55
	s_delay_alu instid0(VALU_DEP_1) | instskip(NEXT) | instid1(VALU_DEP_3)
	v_max_f32_e32 v30, 0x34cd15ae, v30
	v_ashrrev_i32_e32 v57, 31, v56
	s_delay_alu instid0(VALU_DEP_2) | instskip(NEXT) | instid1(VALU_DEP_2)
	v_mul_f32_e32 v55, v39, v30
	v_lshlrev_b64 v[56:57], 3, v[56:57]
	s_delay_alu instid0(VALU_DEP_2) | instskip(NEXT) | instid1(VALU_DEP_2)
	v_mul_f32_e32 v58, v55, v55
	v_add_co_u32 v56, vcc_lo, s12, v56
	s_delay_alu instid0(VALU_DEP_3) | instskip(NEXT) | instid1(VALU_DEP_3)
	v_add_co_ci_u32_e32 v57, vcc_lo, s13, v57, vcc_lo
	v_fmaak_f32 v59, s22, v58, 0x3ded3cb2
	v_fmaak_f32 v60, s23, v58, 0x3f01e2bc
	global_load_b64 v[56:57], v[56:57], off
	v_fma_f32 v59, v58, v59, 1.0
	s_delay_alu instid0(VALU_DEP_1) | instskip(SKIP_1) | instid1(VALU_DEP_1)
	v_fmac_f32_e32 v59, v55, v60
	v_rsq_f32_e32 v30, v30
	v_div_scale_f32 v60, null, v59, v59, 1.0
	v_div_scale_f32 v63, vcc_lo, 1.0, v59, 1.0
	s_delay_alu instid0(VALU_DEP_2) | instskip(SKIP_2) | instid1(VALU_DEP_1)
	v_rcp_f32_e32 v61, v60
	s_waitcnt_depctr 0xfff
	v_fma_f32 v62, -v60, v61, 1.0
	v_dual_fmac_f32 v61, v62, v61 :: v_dual_fmaak_f32 v68, s44, v58, 0x3a83ca0c
	v_fmaak_f32 v65, s43, v58, 0xb85ffb93
	v_and_b32_e32 v66, s4, v50
	s_delay_alu instid0(VALU_DEP_3) | instskip(NEXT) | instid1(VALU_DEP_1)
	v_mul_f32_e32 v62, v63, v61
	v_fma_f32 v64, -v60, v62, v63
	s_delay_alu instid0(VALU_DEP_1) | instskip(SKIP_1) | instid1(VALU_DEP_2)
	v_fmac_f32_e32 v62, v64, v61
	v_fmaak_f32 v64, v58, v65, 0xbc9ded90
	v_fma_f32 v60, -v60, v62, v63
	v_fmaak_f32 v63, v58, v68, 0x3d8eaf3b
	s_delay_alu instid0(VALU_DEP_3) | instskip(SKIP_3) | instid1(VALU_DEP_4)
	v_fmaak_f32 v58, v58, v64, 0xbf409397
	v_mul_f32_e32 v67, v30, v30
	v_cmp_eq_u32_e64 s4, 0, v66
	v_div_fmas_f32 v60, v60, v61, v62
	v_fmac_f32_e32 v58, v55, v63
	s_delay_alu instid0(VALU_DEP_3) | instskip(NEXT) | instid1(VALU_DEP_3)
	v_cndmask_b32_e64 v65, 1.0, 0, s4
	v_div_fixup_f32 v55, v60, v59, 1.0
	s_delay_alu instid0(VALU_DEP_1) | instskip(NEXT) | instid1(VALU_DEP_1)
	v_mul_f32_e32 v55, v55, v58
	v_mul_f32_e32 v55, v41, v55
	;; [unrolled: 1-line block ×3, first 2 shown]
	s_delay_alu instid0(VALU_DEP_1) | instskip(NEXT) | instid1(VALU_DEP_1)
	v_mul_f32_e32 v61, v67, v66
	v_mul_f32_e32 v59, v65, v61
	s_waitcnt vmcnt(0)
	s_delay_alu instid0(VALU_DEP_1) | instskip(NEXT) | instid1(VALU_DEP_1)
	v_fma_f32 v56, v59, v57, -v56
	v_dual_mul_f32 v57, v65, v67 :: v_dual_mul_f32 v56, v59, v56
	s_delay_alu instid0(VALU_DEP_1) | instskip(NEXT) | instid1(VALU_DEP_1)
	v_dual_fmac_f32 v55, v30, v57 :: v_dual_mul_f32 v30, v67, v56
	v_fmac_f32_e32 v30, v31, v55
	s_delay_alu instid0(VALU_DEP_1)
	v_fma_f32 v53, -v54, v30, v53
	v_fma_f32 v52, -v29, v30, v52
	;; [unrolled: 1-line block ×3, first 2 shown]
	v_fma_f32 v3, v54, v30, v3
	v_fma_f32 v11, v29, v30, v11
	;; [unrolled: 1-line block ×3, first 2 shown]
.LBB0_30:                               ;   in Loop: Header=BB0_7 Depth=2
	s_or_b32 exec_lo, exec_lo, s49
.LBB0_31:                               ;   in Loop: Header=BB0_7 Depth=2
	s_delay_alu instid0(SALU_CYCLE_1)
	s_or_b32 exec_lo, exec_lo, s48
.LBB0_32:                               ;   in Loop: Header=BB0_7 Depth=2
	s_delay_alu instid0(SALU_CYCLE_1) | instskip(SKIP_3) | instid1(VALU_DEP_1)
	s_or_b32 exec_lo, exec_lo, s47
	s_lshl_b32 s4, 16, s46
	s_mov_b32 s47, exec_lo
	v_and_b32_e32 v28, s4, v49
	v_cmpx_ne_u32_e32 0, v28
	s_cbranch_execz .LBB0_38
; %bb.33:                               ;   in Loop: Header=BB0_7 Depth=2
	ds_load_b128 v[28:31], v47 offset:512
	s_mov_b32 s48, exec_lo
	s_waitcnt vmcnt(1) lgkmcnt(0)
	v_dual_sub_f32 v29, v29, v25 :: v_dual_sub_f32 v54, v28, v24
	s_delay_alu instid0(VALU_DEP_1) | instskip(NEXT) | instid1(VALU_DEP_1)
	v_dual_sub_f32 v28, v30, v26 :: v_dual_mul_f32 v55, v29, v29
	v_fmac_f32_e32 v55, v54, v54
	s_delay_alu instid0(VALU_DEP_1) | instskip(NEXT) | instid1(VALU_DEP_1)
	v_fmac_f32_e32 v55, v28, v28
	v_cmpx_gt_f32_e32 s25, v55
	s_cbranch_execz .LBB0_37
; %bb.34:                               ;   in Loop: Header=BB0_7 Depth=2
	s_cmp_lg_u32 s39, s45
	s_cselect_b32 s49, -1, 0
	s_delay_alu instid0(SALU_CYCLE_1) | instskip(NEXT) | instid1(SALU_CYCLE_1)
	s_or_b32 s49, s0, s49
	s_or_b32 s50, s5, s49
	s_delay_alu instid0(SALU_CYCLE_1)
	s_and_saveexec_b32 s49, s50
	s_cbranch_execz .LBB0_36
; %bb.35:                               ;   in Loop: Header=BB0_7 Depth=2
	ds_load_b32 v30, v45 offset:128
	v_mul_f32_e32 v31, v27, v31
	s_waitcnt vmcnt(0) lgkmcnt(0)
	v_mad_u64_u32 v[56:57], null, v30, s24, v[35:36]
	v_max_f32_e32 v30, v55, v55
	s_delay_alu instid0(VALU_DEP_1) | instskip(NEXT) | instid1(VALU_DEP_3)
	v_max_f32_e32 v30, 0x34cd15ae, v30
	v_ashrrev_i32_e32 v57, 31, v56
	s_delay_alu instid0(VALU_DEP_2) | instskip(NEXT) | instid1(VALU_DEP_2)
	v_mul_f32_e32 v55, v39, v30
	v_lshlrev_b64 v[56:57], 3, v[56:57]
	s_delay_alu instid0(VALU_DEP_2) | instskip(NEXT) | instid1(VALU_DEP_2)
	v_mul_f32_e32 v58, v55, v55
	v_add_co_u32 v56, vcc_lo, s12, v56
	s_delay_alu instid0(VALU_DEP_3) | instskip(NEXT) | instid1(VALU_DEP_3)
	v_add_co_ci_u32_e32 v57, vcc_lo, s13, v57, vcc_lo
	v_fmaak_f32 v59, s22, v58, 0x3ded3cb2
	v_fmaak_f32 v60, s23, v58, 0x3f01e2bc
	global_load_b64 v[56:57], v[56:57], off
	v_fma_f32 v59, v58, v59, 1.0
	s_delay_alu instid0(VALU_DEP_1) | instskip(SKIP_1) | instid1(VALU_DEP_1)
	v_fmac_f32_e32 v59, v55, v60
	v_rsq_f32_e32 v30, v30
	v_div_scale_f32 v60, null, v59, v59, 1.0
	v_div_scale_f32 v63, vcc_lo, 1.0, v59, 1.0
	s_delay_alu instid0(VALU_DEP_2) | instskip(SKIP_2) | instid1(VALU_DEP_1)
	v_rcp_f32_e32 v61, v60
	s_waitcnt_depctr 0xfff
	v_fma_f32 v62, -v60, v61, 1.0
	v_dual_fmac_f32 v61, v62, v61 :: v_dual_fmaak_f32 v68, s44, v58, 0x3a83ca0c
	v_fmaak_f32 v65, s43, v58, 0xb85ffb93
	v_and_b32_e32 v66, s4, v50
	s_delay_alu instid0(VALU_DEP_3) | instskip(NEXT) | instid1(VALU_DEP_1)
	v_mul_f32_e32 v62, v63, v61
	v_fma_f32 v64, -v60, v62, v63
	s_delay_alu instid0(VALU_DEP_1) | instskip(SKIP_1) | instid1(VALU_DEP_2)
	v_fmac_f32_e32 v62, v64, v61
	v_fmaak_f32 v64, v58, v65, 0xbc9ded90
	v_fma_f32 v60, -v60, v62, v63
	v_fmaak_f32 v63, v58, v68, 0x3d8eaf3b
	s_delay_alu instid0(VALU_DEP_3) | instskip(SKIP_3) | instid1(VALU_DEP_4)
	v_fmaak_f32 v58, v58, v64, 0xbf409397
	v_mul_f32_e32 v67, v30, v30
	v_cmp_eq_u32_e64 s4, 0, v66
	v_div_fmas_f32 v60, v60, v61, v62
	v_fmac_f32_e32 v58, v55, v63
	s_delay_alu instid0(VALU_DEP_3) | instskip(NEXT) | instid1(VALU_DEP_3)
	v_cndmask_b32_e64 v65, 1.0, 0, s4
	v_div_fixup_f32 v55, v60, v59, 1.0
	s_delay_alu instid0(VALU_DEP_1) | instskip(NEXT) | instid1(VALU_DEP_1)
	v_mul_f32_e32 v55, v55, v58
	v_mul_f32_e32 v55, v41, v55
	;; [unrolled: 1-line block ×3, first 2 shown]
	s_delay_alu instid0(VALU_DEP_1) | instskip(NEXT) | instid1(VALU_DEP_1)
	v_mul_f32_e32 v61, v67, v66
	v_mul_f32_e32 v59, v65, v61
	s_waitcnt vmcnt(0)
	s_delay_alu instid0(VALU_DEP_1) | instskip(NEXT) | instid1(VALU_DEP_1)
	v_fma_f32 v56, v59, v57, -v56
	v_dual_mul_f32 v57, v65, v67 :: v_dual_mul_f32 v56, v59, v56
	s_delay_alu instid0(VALU_DEP_1) | instskip(NEXT) | instid1(VALU_DEP_1)
	v_dual_fmac_f32 v55, v30, v57 :: v_dual_mul_f32 v30, v67, v56
	v_fmac_f32_e32 v30, v31, v55
	s_delay_alu instid0(VALU_DEP_1)
	v_fma_f32 v53, -v54, v30, v53
	v_fma_f32 v52, -v29, v30, v52
	;; [unrolled: 1-line block ×3, first 2 shown]
	v_fma_f32 v4, v54, v30, v4
	v_fma_f32 v12, v29, v30, v12
	;; [unrolled: 1-line block ×3, first 2 shown]
.LBB0_36:                               ;   in Loop: Header=BB0_7 Depth=2
	s_or_b32 exec_lo, exec_lo, s49
.LBB0_37:                               ;   in Loop: Header=BB0_7 Depth=2
	s_delay_alu instid0(SALU_CYCLE_1)
	s_or_b32 exec_lo, exec_lo, s48
.LBB0_38:                               ;   in Loop: Header=BB0_7 Depth=2
	s_delay_alu instid0(SALU_CYCLE_1) | instskip(SKIP_3) | instid1(VALU_DEP_1)
	s_or_b32 exec_lo, exec_lo, s47
	s_lshl_b32 s4, 32, s46
	s_mov_b32 s47, exec_lo
	v_and_b32_e32 v28, s4, v49
	v_cmpx_ne_u32_e32 0, v28
	s_cbranch_execz .LBB0_44
; %bb.39:                               ;   in Loop: Header=BB0_7 Depth=2
	ds_load_b128 v[28:31], v47 offset:640
	s_mov_b32 s48, exec_lo
	s_waitcnt vmcnt(1) lgkmcnt(0)
	v_dual_sub_f32 v29, v29, v25 :: v_dual_sub_f32 v54, v28, v24
	s_delay_alu instid0(VALU_DEP_1) | instskip(NEXT) | instid1(VALU_DEP_1)
	v_dual_sub_f32 v28, v30, v26 :: v_dual_mul_f32 v55, v29, v29
	v_fmac_f32_e32 v55, v54, v54
	s_delay_alu instid0(VALU_DEP_1) | instskip(NEXT) | instid1(VALU_DEP_1)
	v_fmac_f32_e32 v55, v28, v28
	v_cmpx_gt_f32_e32 s25, v55
	s_cbranch_execz .LBB0_43
; %bb.40:                               ;   in Loop: Header=BB0_7 Depth=2
	s_cmp_lg_u32 s40, s45
	s_cselect_b32 s49, -1, 0
	s_delay_alu instid0(SALU_CYCLE_1) | instskip(NEXT) | instid1(SALU_CYCLE_1)
	s_or_b32 s49, s0, s49
	s_or_b32 s50, s5, s49
	s_delay_alu instid0(SALU_CYCLE_1)
	s_and_saveexec_b32 s49, s50
	s_cbranch_execz .LBB0_42
; %bb.41:                               ;   in Loop: Header=BB0_7 Depth=2
	ds_load_b32 v30, v45 offset:160
	v_mul_f32_e32 v31, v27, v31
	s_waitcnt vmcnt(0) lgkmcnt(0)
	v_mad_u64_u32 v[56:57], null, v30, s24, v[35:36]
	v_max_f32_e32 v30, v55, v55
	s_delay_alu instid0(VALU_DEP_1) | instskip(NEXT) | instid1(VALU_DEP_3)
	v_max_f32_e32 v30, 0x34cd15ae, v30
	v_ashrrev_i32_e32 v57, 31, v56
	s_delay_alu instid0(VALU_DEP_2) | instskip(NEXT) | instid1(VALU_DEP_2)
	v_mul_f32_e32 v55, v39, v30
	v_lshlrev_b64 v[56:57], 3, v[56:57]
	s_delay_alu instid0(VALU_DEP_2) | instskip(NEXT) | instid1(VALU_DEP_2)
	v_mul_f32_e32 v58, v55, v55
	v_add_co_u32 v56, vcc_lo, s12, v56
	s_delay_alu instid0(VALU_DEP_3) | instskip(NEXT) | instid1(VALU_DEP_3)
	v_add_co_ci_u32_e32 v57, vcc_lo, s13, v57, vcc_lo
	v_fmaak_f32 v59, s22, v58, 0x3ded3cb2
	v_fmaak_f32 v60, s23, v58, 0x3f01e2bc
	global_load_b64 v[56:57], v[56:57], off
	v_fma_f32 v59, v58, v59, 1.0
	s_delay_alu instid0(VALU_DEP_1) | instskip(SKIP_1) | instid1(VALU_DEP_1)
	v_fmac_f32_e32 v59, v55, v60
	v_rsq_f32_e32 v30, v30
	v_div_scale_f32 v60, null, v59, v59, 1.0
	v_div_scale_f32 v63, vcc_lo, 1.0, v59, 1.0
	s_delay_alu instid0(VALU_DEP_2) | instskip(SKIP_2) | instid1(VALU_DEP_1)
	v_rcp_f32_e32 v61, v60
	s_waitcnt_depctr 0xfff
	v_fma_f32 v62, -v60, v61, 1.0
	v_dual_fmac_f32 v61, v62, v61 :: v_dual_fmaak_f32 v68, s44, v58, 0x3a83ca0c
	v_fmaak_f32 v65, s43, v58, 0xb85ffb93
	v_and_b32_e32 v66, s4, v50
	s_delay_alu instid0(VALU_DEP_3) | instskip(NEXT) | instid1(VALU_DEP_1)
	v_mul_f32_e32 v62, v63, v61
	v_fma_f32 v64, -v60, v62, v63
	s_delay_alu instid0(VALU_DEP_1) | instskip(SKIP_1) | instid1(VALU_DEP_2)
	v_fmac_f32_e32 v62, v64, v61
	v_fmaak_f32 v64, v58, v65, 0xbc9ded90
	v_fma_f32 v60, -v60, v62, v63
	v_fmaak_f32 v63, v58, v68, 0x3d8eaf3b
	s_delay_alu instid0(VALU_DEP_3) | instskip(SKIP_3) | instid1(VALU_DEP_4)
	v_fmaak_f32 v58, v58, v64, 0xbf409397
	v_mul_f32_e32 v67, v30, v30
	v_cmp_eq_u32_e64 s4, 0, v66
	v_div_fmas_f32 v60, v60, v61, v62
	v_fmac_f32_e32 v58, v55, v63
	s_delay_alu instid0(VALU_DEP_3) | instskip(NEXT) | instid1(VALU_DEP_3)
	v_cndmask_b32_e64 v65, 1.0, 0, s4
	v_div_fixup_f32 v55, v60, v59, 1.0
	s_delay_alu instid0(VALU_DEP_1) | instskip(NEXT) | instid1(VALU_DEP_1)
	v_mul_f32_e32 v55, v55, v58
	v_mul_f32_e32 v55, v41, v55
	;; [unrolled: 1-line block ×3, first 2 shown]
	s_delay_alu instid0(VALU_DEP_1) | instskip(NEXT) | instid1(VALU_DEP_1)
	v_mul_f32_e32 v61, v67, v66
	v_mul_f32_e32 v59, v65, v61
	s_waitcnt vmcnt(0)
	s_delay_alu instid0(VALU_DEP_1) | instskip(NEXT) | instid1(VALU_DEP_1)
	v_fma_f32 v56, v59, v57, -v56
	v_dual_mul_f32 v57, v65, v67 :: v_dual_mul_f32 v56, v59, v56
	s_delay_alu instid0(VALU_DEP_1) | instskip(NEXT) | instid1(VALU_DEP_1)
	v_dual_fmac_f32 v55, v30, v57 :: v_dual_mul_f32 v30, v67, v56
	v_fmac_f32_e32 v30, v31, v55
	s_delay_alu instid0(VALU_DEP_1)
	v_fma_f32 v53, -v54, v30, v53
	v_fma_f32 v52, -v29, v30, v52
	;; [unrolled: 1-line block ×3, first 2 shown]
	v_fma_f32 v5, v54, v30, v5
	v_fma_f32 v13, v29, v30, v13
	;; [unrolled: 1-line block ×3, first 2 shown]
.LBB0_42:                               ;   in Loop: Header=BB0_7 Depth=2
	s_or_b32 exec_lo, exec_lo, s49
.LBB0_43:                               ;   in Loop: Header=BB0_7 Depth=2
	s_delay_alu instid0(SALU_CYCLE_1)
	s_or_b32 exec_lo, exec_lo, s48
.LBB0_44:                               ;   in Loop: Header=BB0_7 Depth=2
	s_delay_alu instid0(SALU_CYCLE_1) | instskip(SKIP_3) | instid1(VALU_DEP_1)
	s_or_b32 exec_lo, exec_lo, s47
	s_lshl_b32 s4, 64, s46
	s_mov_b32 s47, exec_lo
	v_and_b32_e32 v28, s4, v49
	v_cmpx_ne_u32_e32 0, v28
	s_cbranch_execz .LBB0_50
; %bb.45:                               ;   in Loop: Header=BB0_7 Depth=2
	ds_load_b128 v[28:31], v47 offset:768
	s_mov_b32 s48, exec_lo
	s_waitcnt vmcnt(1) lgkmcnt(0)
	v_dual_sub_f32 v29, v29, v25 :: v_dual_sub_f32 v54, v28, v24
	s_delay_alu instid0(VALU_DEP_1) | instskip(NEXT) | instid1(VALU_DEP_1)
	v_dual_sub_f32 v28, v30, v26 :: v_dual_mul_f32 v55, v29, v29
	v_fmac_f32_e32 v55, v54, v54
	s_delay_alu instid0(VALU_DEP_1) | instskip(NEXT) | instid1(VALU_DEP_1)
	v_fmac_f32_e32 v55, v28, v28
	v_cmpx_gt_f32_e32 s25, v55
	s_cbranch_execz .LBB0_49
; %bb.46:                               ;   in Loop: Header=BB0_7 Depth=2
	s_cmp_lg_u32 s41, s45
	s_cselect_b32 s49, -1, 0
	s_delay_alu instid0(SALU_CYCLE_1) | instskip(NEXT) | instid1(SALU_CYCLE_1)
	s_or_b32 s49, s0, s49
	s_or_b32 s50, s5, s49
	s_delay_alu instid0(SALU_CYCLE_1)
	s_and_saveexec_b32 s49, s50
	s_cbranch_execz .LBB0_48
; %bb.47:                               ;   in Loop: Header=BB0_7 Depth=2
	ds_load_b32 v30, v45 offset:192
	v_mul_f32_e32 v31, v27, v31
	s_waitcnt vmcnt(0) lgkmcnt(0)
	v_mad_u64_u32 v[56:57], null, v30, s24, v[35:36]
	v_max_f32_e32 v30, v55, v55
	s_delay_alu instid0(VALU_DEP_1) | instskip(NEXT) | instid1(VALU_DEP_3)
	v_max_f32_e32 v30, 0x34cd15ae, v30
	v_ashrrev_i32_e32 v57, 31, v56
	s_delay_alu instid0(VALU_DEP_2) | instskip(NEXT) | instid1(VALU_DEP_2)
	v_mul_f32_e32 v55, v39, v30
	v_lshlrev_b64 v[56:57], 3, v[56:57]
	s_delay_alu instid0(VALU_DEP_2) | instskip(NEXT) | instid1(VALU_DEP_2)
	v_mul_f32_e32 v58, v55, v55
	v_add_co_u32 v56, vcc_lo, s12, v56
	s_delay_alu instid0(VALU_DEP_3) | instskip(NEXT) | instid1(VALU_DEP_3)
	v_add_co_ci_u32_e32 v57, vcc_lo, s13, v57, vcc_lo
	v_fmaak_f32 v59, s22, v58, 0x3ded3cb2
	v_fmaak_f32 v60, s23, v58, 0x3f01e2bc
	global_load_b64 v[56:57], v[56:57], off
	v_fma_f32 v59, v58, v59, 1.0
	s_delay_alu instid0(VALU_DEP_1) | instskip(SKIP_1) | instid1(VALU_DEP_1)
	v_fmac_f32_e32 v59, v55, v60
	v_rsq_f32_e32 v30, v30
	v_div_scale_f32 v60, null, v59, v59, 1.0
	v_div_scale_f32 v63, vcc_lo, 1.0, v59, 1.0
	s_delay_alu instid0(VALU_DEP_2) | instskip(SKIP_2) | instid1(VALU_DEP_1)
	v_rcp_f32_e32 v61, v60
	s_waitcnt_depctr 0xfff
	v_fma_f32 v62, -v60, v61, 1.0
	v_dual_fmac_f32 v61, v62, v61 :: v_dual_fmaak_f32 v68, s44, v58, 0x3a83ca0c
	v_fmaak_f32 v65, s43, v58, 0xb85ffb93
	v_and_b32_e32 v66, s4, v50
	s_delay_alu instid0(VALU_DEP_3) | instskip(NEXT) | instid1(VALU_DEP_1)
	v_mul_f32_e32 v62, v63, v61
	v_fma_f32 v64, -v60, v62, v63
	s_delay_alu instid0(VALU_DEP_1) | instskip(SKIP_1) | instid1(VALU_DEP_2)
	v_fmac_f32_e32 v62, v64, v61
	v_fmaak_f32 v64, v58, v65, 0xbc9ded90
	v_fma_f32 v60, -v60, v62, v63
	v_fmaak_f32 v63, v58, v68, 0x3d8eaf3b
	s_delay_alu instid0(VALU_DEP_3) | instskip(SKIP_3) | instid1(VALU_DEP_4)
	v_fmaak_f32 v58, v58, v64, 0xbf409397
	v_mul_f32_e32 v67, v30, v30
	v_cmp_eq_u32_e64 s4, 0, v66
	v_div_fmas_f32 v60, v60, v61, v62
	v_fmac_f32_e32 v58, v55, v63
	s_delay_alu instid0(VALU_DEP_3) | instskip(NEXT) | instid1(VALU_DEP_3)
	v_cndmask_b32_e64 v65, 1.0, 0, s4
	v_div_fixup_f32 v55, v60, v59, 1.0
	s_delay_alu instid0(VALU_DEP_1) | instskip(NEXT) | instid1(VALU_DEP_1)
	v_mul_f32_e32 v55, v55, v58
	v_mul_f32_e32 v55, v41, v55
	;; [unrolled: 1-line block ×3, first 2 shown]
	s_delay_alu instid0(VALU_DEP_1) | instskip(NEXT) | instid1(VALU_DEP_1)
	v_mul_f32_e32 v61, v67, v66
	v_mul_f32_e32 v59, v65, v61
	s_waitcnt vmcnt(0)
	s_delay_alu instid0(VALU_DEP_1) | instskip(NEXT) | instid1(VALU_DEP_1)
	v_fma_f32 v56, v59, v57, -v56
	v_dual_mul_f32 v57, v65, v67 :: v_dual_mul_f32 v56, v59, v56
	s_delay_alu instid0(VALU_DEP_1) | instskip(NEXT) | instid1(VALU_DEP_1)
	v_dual_fmac_f32 v55, v30, v57 :: v_dual_mul_f32 v30, v67, v56
	v_fmac_f32_e32 v30, v31, v55
	s_delay_alu instid0(VALU_DEP_1)
	v_fma_f32 v53, -v54, v30, v53
	v_fma_f32 v52, -v29, v30, v52
	;; [unrolled: 1-line block ×3, first 2 shown]
	v_fma_f32 v6, v54, v30, v6
	v_fma_f32 v14, v29, v30, v14
	;; [unrolled: 1-line block ×3, first 2 shown]
.LBB0_48:                               ;   in Loop: Header=BB0_7 Depth=2
	s_or_b32 exec_lo, exec_lo, s49
.LBB0_49:                               ;   in Loop: Header=BB0_7 Depth=2
	s_delay_alu instid0(SALU_CYCLE_1)
	s_or_b32 exec_lo, exec_lo, s48
.LBB0_50:                               ;   in Loop: Header=BB0_7 Depth=2
	s_delay_alu instid0(SALU_CYCLE_1) | instskip(SKIP_3) | instid1(VALU_DEP_1)
	s_or_b32 exec_lo, exec_lo, s47
	s_lshl_b32 s4, 0x80, s46
	s_mov_b32 s46, exec_lo
	v_and_b32_e32 v28, s4, v49
	v_cmpx_ne_u32_e32 0, v28
	s_cbranch_execz .LBB0_56
; %bb.51:                               ;   in Loop: Header=BB0_7 Depth=2
	ds_load_b128 v[28:31], v47 offset:896
	s_mov_b32 s47, exec_lo
	s_waitcnt vmcnt(1) lgkmcnt(0)
	v_dual_sub_f32 v25, v29, v25 :: v_dual_sub_f32 v28, v28, v24
	s_delay_alu instid0(VALU_DEP_1) | instskip(NEXT) | instid1(VALU_DEP_1)
	v_dual_sub_f32 v24, v30, v26 :: v_dual_mul_f32 v29, v25, v25
	v_fmac_f32_e32 v29, v28, v28
	s_delay_alu instid0(VALU_DEP_1) | instskip(NEXT) | instid1(VALU_DEP_1)
	v_fmac_f32_e32 v29, v24, v24
	v_cmpx_gt_f32_e32 s25, v29
	s_cbranch_execz .LBB0_55
; %bb.52:                               ;   in Loop: Header=BB0_7 Depth=2
	s_cmp_lg_u32 s42, s45
	s_cselect_b32 s45, -1, 0
	s_delay_alu instid0(SALU_CYCLE_1) | instskip(NEXT) | instid1(SALU_CYCLE_1)
	s_or_b32 s45, s0, s45
	s_or_b32 s48, s5, s45
	s_delay_alu instid0(SALU_CYCLE_1)
	s_and_saveexec_b32 s45, s48
	s_cbranch_execz .LBB0_54
; %bb.53:                               ;   in Loop: Header=BB0_7 Depth=2
	ds_load_b32 v26, v45 offset:224
	v_mul_f32_e32 v27, v27, v31
	s_waitcnt vmcnt(0) lgkmcnt(0)
	v_mad_u64_u32 v[54:55], null, v26, s24, v[35:36]
	v_max_f32_e32 v26, v29, v29
	s_delay_alu instid0(VALU_DEP_1) | instskip(NEXT) | instid1(VALU_DEP_3)
	v_max_f32_e32 v26, 0x34cd15ae, v26
	v_ashrrev_i32_e32 v55, 31, v54
	s_delay_alu instid0(VALU_DEP_2) | instskip(NEXT) | instid1(VALU_DEP_2)
	v_mul_f32_e32 v29, v39, v26
	v_lshlrev_b64 v[54:55], 3, v[54:55]
	s_delay_alu instid0(VALU_DEP_2) | instskip(NEXT) | instid1(VALU_DEP_2)
	v_mul_f32_e32 v30, v29, v29
	v_add_co_u32 v54, vcc_lo, s12, v54
	s_delay_alu instid0(VALU_DEP_3) | instskip(NEXT) | instid1(VALU_DEP_3)
	v_add_co_ci_u32_e32 v55, vcc_lo, s13, v55, vcc_lo
	v_fmaak_f32 v35, s22, v30, 0x3ded3cb2
	v_fmaak_f32 v56, s23, v30, 0x3f01e2bc
	global_load_b64 v[54:55], v[54:55], off
	v_fma_f32 v35, v30, v35, 1.0
	s_delay_alu instid0(VALU_DEP_1) | instskip(SKIP_1) | instid1(VALU_DEP_1)
	v_fmac_f32_e32 v35, v29, v56
	v_rsq_f32_e32 v26, v26
	v_div_scale_f32 v56, null, v35, v35, 1.0
	v_div_scale_f32 v59, vcc_lo, 1.0, v35, 1.0
	s_delay_alu instid0(VALU_DEP_2)
	v_rcp_f32_e32 v57, v56
	s_waitcnt_depctr 0xfff
	v_mul_f32_e32 v63, v26, v26
	v_fmaak_f32 v64, s44, v30, 0x3a83ca0c
	v_and_b32_e32 v62, s4, v50
	v_fmaak_f32 v61, s43, v30, 0xb85ffb93
	v_fma_f32 v58, -v56, v57, 1.0
	s_delay_alu instid0(VALU_DEP_1) | instskip(NEXT) | instid1(VALU_DEP_1)
	v_fmac_f32_e32 v57, v58, v57
	v_mul_f32_e32 v58, v59, v57
	s_delay_alu instid0(VALU_DEP_1) | instskip(NEXT) | instid1(VALU_DEP_1)
	v_fma_f32 v60, -v56, v58, v59
	v_fmac_f32_e32 v58, v60, v57
	s_delay_alu instid0(VALU_DEP_1)
	v_fma_f32 v56, -v56, v58, v59
	v_fmaak_f32 v59, v30, v64, 0x3d8eaf3b
	v_cmp_eq_u32_e64 s4, 0, v62
	v_mul_f32_e32 v62, v63, v63
	v_fmaak_f32 v60, v30, v61, 0xbc9ded90
	v_div_fmas_f32 v56, v56, v57, v58
	s_delay_alu instid0(VALU_DEP_4) | instskip(NEXT) | instid1(VALU_DEP_3)
	v_cndmask_b32_e64 v61, 1.0, 0, s4
	v_dual_mul_f32 v57, v63, v62 :: v_dual_fmaak_f32 v30, v30, v60, 0xbf409397
	s_delay_alu instid0(VALU_DEP_1) | instskip(NEXT) | instid1(VALU_DEP_4)
	v_fmac_f32_e32 v30, v29, v59
	v_div_fixup_f32 v29, v56, v35, 1.0
	s_delay_alu instid0(VALU_DEP_3) | instskip(NEXT) | instid1(VALU_DEP_2)
	v_mul_f32_e32 v35, v61, v57
	v_mul_f32_e32 v29, v29, v30
	s_delay_alu instid0(VALU_DEP_1) | instskip(SKIP_1) | instid1(VALU_DEP_3)
	v_mul_f32_e32 v29, v41, v29
	s_waitcnt vmcnt(0)
	v_fma_f32 v30, v35, v55, -v54
	v_mul_f32_e32 v54, v61, v63
	s_delay_alu instid0(VALU_DEP_2) | instskip(NEXT) | instid1(VALU_DEP_2)
	v_mul_f32_e32 v30, v35, v30
	v_fmac_f32_e32 v29, v26, v54
	s_delay_alu instid0(VALU_DEP_2) | instskip(NEXT) | instid1(VALU_DEP_1)
	v_mul_f32_e32 v26, v63, v30
	v_fmac_f32_e32 v26, v27, v29
	s_delay_alu instid0(VALU_DEP_1)
	v_fma_f32 v53, -v28, v26, v53
	v_fma_f32 v52, -v25, v26, v52
	;; [unrolled: 1-line block ×3, first 2 shown]
	v_fma_f32 v7, v28, v26, v7
	v_fma_f32 v15, v25, v26, v15
	;; [unrolled: 1-line block ×3, first 2 shown]
.LBB0_54:                               ;   in Loop: Header=BB0_7 Depth=2
	s_or_b32 exec_lo, exec_lo, s45
.LBB0_55:                               ;   in Loop: Header=BB0_7 Depth=2
	s_delay_alu instid0(SALU_CYCLE_1)
	s_or_b32 exec_lo, exec_lo, s47
.LBB0_56:                               ;   in Loop: Header=BB0_7 Depth=2
	s_delay_alu instid0(SALU_CYCLE_1) | instskip(SKIP_4) | instid1(VALU_DEP_1)
	s_or_b32 exec_lo, exec_lo, s46
	v_cmp_ne_u32_e32 vcc_lo, 31, v48
	v_add_nc_u32_e32 v28, -2, v48
	s_waitcnt vmcnt(1)
	v_add_co_ci_u32_e32 v25, vcc_lo, 0, v48, vcc_lo
	v_lshlrev_b32_e32 v25, 2, v25
	ds_bpermute_b32 v26, v25, v53
	ds_bpermute_b32 v25, v25, v51
	v_add_nc_u32_e32 v24, -1, v48
	s_waitcnt lgkmcnt(0)
	v_dual_add_f32 v26, v53, v26 :: v_dual_add_f32 v25, v51, v25
	s_delay_alu instid0(VALU_DEP_2) | instskip(SKIP_4) | instid1(VALU_DEP_2)
	v_cmp_gt_i32_e32 vcc_lo, 0, v24
	v_cndmask_b32_e32 v24, v24, v48, vcc_lo
	v_cmp_gt_u32_e32 vcc_lo, 30, v48
	v_cndmask_b32_e64 v27, 0, 1, vcc_lo
	v_cmp_gt_i32_e32 vcc_lo, 0, v28
	v_lshlrev_b32_e32 v27, 1, v27
	v_lshlrev_b32_e32 v24, 2, v24
	v_cndmask_b32_e32 v28, v28, v48, vcc_lo
	v_cmp_gt_u32_e32 vcc_lo, 28, v48
	s_delay_alu instid0(VALU_DEP_4) | instskip(SKIP_4) | instid1(VALU_DEP_1)
	v_add_lshl_u32 v27, v27, v48, 2
	ds_bpermute_b32 v24, v24, v52
	v_lshlrev_b32_e32 v28, 2, v28
	s_waitcnt lgkmcnt(0)
	v_add_f32_e32 v24, v52, v24
	v_cndmask_b32_e64 v24, v24, v26, s2
	ds_bpermute_b32 v26, v28, v25
	v_cndmask_b32_e64 v28, 0, 1, vcc_lo
	ds_bpermute_b32 v27, v27, v24
	s_waitcnt lgkmcnt(0)
	v_dual_add_f32 v25, v25, v26 :: v_dual_add_f32 v24, v24, v27
	v_lshlrev_b32_e32 v27, 2, v28
	s_delay_alu instid0(VALU_DEP_2) | instskip(NEXT) | instid1(VALU_DEP_2)
	v_cndmask_b32_e64 v26, v25, v24, s3
	v_add_lshl_u32 v24, v27, v48, 2
	ds_bpermute_b32 v28, v24, v26
	s_and_saveexec_b32 s4, s1
	s_delay_alu instid0(SALU_CYCLE_1)
	s_xor_b32 s4, exec_lo, s4
	s_cbranch_execz .LBB0_5
; %bb.57:                               ;   in Loop: Header=BB0_7 Depth=2
	v_mad_i64_i32 v[24:25], null, v34, 12, v[32:33]
	s_waitcnt lgkmcnt(0)
	v_add_f32_e32 v28, v26, v28
	s_mov_b32 s45, 0
	global_load_b32 v27, v[24:25], off
.LBB0_58:                               ;   Parent Loop BB0_3 Depth=1
                                        ;     Parent Loop BB0_7 Depth=2
                                        ; =>    This Inner Loop Header: Depth=3
	s_waitcnt vmcnt(0)
	v_add_f32_e32 v26, v27, v28
	global_atomic_cmpswap_b32 v26, v[24:25], v[26:27], off glc
	s_waitcnt vmcnt(0)
	v_cmp_eq_u32_e32 vcc_lo, v26, v27
	v_mov_b32_e32 v27, v26
	s_or_b32 s45, vcc_lo, s45
	s_delay_alu instid0(SALU_CYCLE_1)
	s_and_not1_b32 exec_lo, exec_lo, s45
	s_cbranch_execnz .LBB0_58
; %bb.59:                               ;   in Loop: Header=BB0_7 Depth=2
	s_or_b32 exec_lo, exec_lo, s45
	s_branch .LBB0_5
.LBB0_60:
	v_lshlrev_b32_e32 v24, 2, v38
	v_cmp_gt_u32_e64 s1, 4, v36
	ds_store_2addr_stride64_b32 v24, v0, v8 offset0:4 offset1:5
	ds_store_b32 v24, v16 offset:1536
	v_add_nc_u32_e32 v30, 0x400, v24
	s_waitcnt vmcnt(0) lgkmcnt(0)
	s_barrier
	buffer_gl0_inv
	s_and_saveexec_b32 s0, s1
	s_cbranch_execz .LBB0_62
; %bb.61:
	ds_load_2addr_b32 v[24:25], v30 offset1:32
	ds_load_2addr_b32 v[26:27], v30 offset0:64 offset1:96
	ds_load_2addr_b32 v[28:29], v30 offset0:128 offset1:160
	s_waitcnt lgkmcnt(2)
	v_add_f32_e32 v0, v25, v24
	s_waitcnt lgkmcnt(1)
	v_add_f32_e32 v8, v27, v26
	;; [unrolled: 2-line block ×3, first 2 shown]
	ds_store_2addr_stride64_b32 v30, v0, v8 offset1:1
	ds_store_b32 v30, v16 offset:512
.LBB0_62:
	s_or_b32 exec_lo, exec_lo, s0
	v_cmp_gt_u32_e64 s2, 2, v36
	s_waitcnt lgkmcnt(0)
	s_barrier
	buffer_gl0_inv
	s_and_saveexec_b32 s0, s2
	s_cbranch_execz .LBB0_64
; %bb.63:
	ds_load_2addr_b32 v[24:25], v30 offset1:16
	ds_load_2addr_b32 v[26:27], v30 offset0:64 offset1:80
	ds_load_2addr_b32 v[28:29], v30 offset0:128 offset1:144
	s_waitcnt lgkmcnt(2)
	v_add_f32_e32 v0, v25, v24
	s_waitcnt lgkmcnt(1)
	v_add_f32_e32 v8, v27, v26
	;; [unrolled: 2-line block ×3, first 2 shown]
	ds_store_2addr_stride64_b32 v30, v0, v8 offset1:1
	ds_store_b32 v30, v16 offset:512
.LBB0_64:
	s_or_b32 exec_lo, exec_lo, s0
	v_lshlrev_b32_e32 v0, 8, v36
	v_lshlrev_b32_e32 v16, 2, v36
	s_bitcmp1_b32 s36, 0
	v_add_nc_u32_e32 v32, s35, v37
	v_cmp_gt_u32_e32 vcc_lo, 3, v36
	v_lshl_add_u32 v31, v37, 2, v0
	v_add_co_u32 v24, s3, s10, v16
	s_delay_alu instid0(VALU_DEP_1) | instskip(NEXT) | instid1(VALU_DEP_3)
	v_add_co_ci_u32_e64 v25, null, s11, 0, s3
	v_dual_mov_b32 v26, 0 :: v_dual_add_nc_u32 v33, 0x400, v31
	s_cselect_b32 s0, -1, 0
	s_waitcnt lgkmcnt(0)
	s_and_b32 s0, s5, s0
	s_mov_b32 s5, 0
	s_barrier
	buffer_gl0_inv
	s_and_saveexec_b32 s4, vcc_lo
	s_cbranch_execz .LBB0_68
; %bb.65:
	v_mad_i64_i32 v[26:27], null, v32, 12, v[24:25]
	global_load_b32 v29, v[26:27], off
	ds_load_b32 v0, v31 offset:1024
	ds_load_b32 v8, v33 offset:32
	s_waitcnt lgkmcnt(0)
	v_add_f32_e32 v0, v0, v8
.LBB0_66:                               ; =>This Inner Loop Header: Depth=1
	s_waitcnt vmcnt(0)
	s_delay_alu instid0(VALU_DEP_1) | instskip(SKIP_4) | instid1(VALU_DEP_2)
	v_add_f32_e32 v28, v29, v0
	global_atomic_cmpswap_b32 v8, v[26:27], v[28:29], off glc
	s_waitcnt vmcnt(0)
	v_cmp_eq_u32_e64 s3, v8, v29
	v_mov_b32_e32 v29, v8
	s_or_b32 s5, s3, s5
	s_delay_alu instid0(SALU_CYCLE_1)
	s_and_not1_b32 exec_lo, exec_lo, s5
	s_cbranch_execnz .LBB0_66
; %bb.67:
	s_or_b32 exec_lo, exec_lo, s5
	v_add_f32_e32 v0, 0, v0
	s_delay_alu instid0(VALU_DEP_1)
	v_cndmask_b32_e64 v26, 0, v0, s0
.LBB0_68:
	s_or_b32 exec_lo, exec_lo, s4
	s_barrier
	buffer_gl0_inv
	ds_store_2addr_stride64_b32 v30, v1, v9 offset1:1
	ds_store_b32 v30, v17 offset:512
	s_waitcnt lgkmcnt(0)
	s_barrier
	buffer_gl0_inv
	s_and_saveexec_b32 s3, s1
	s_cbranch_execz .LBB0_70
; %bb.69:
	ds_load_2addr_b32 v[0:1], v30 offset1:32
	ds_load_2addr_b32 v[8:9], v30 offset0:64 offset1:96
	ds_load_2addr_b32 v[27:28], v30 offset0:128 offset1:160
	s_waitcnt lgkmcnt(2)
	v_add_f32_e32 v0, v1, v0
	s_waitcnt lgkmcnt(0)
	v_dual_add_f32 v1, v9, v8 :: v_dual_add_f32 v8, v28, v27
	ds_store_2addr_stride64_b32 v30, v0, v1 offset1:1
	ds_store_b32 v30, v8 offset:512
.LBB0_70:
	s_or_b32 exec_lo, exec_lo, s3
	s_waitcnt lgkmcnt(0)
	s_barrier
	buffer_gl0_inv
	s_and_saveexec_b32 s3, s2
	s_cbranch_execz .LBB0_72
; %bb.71:
	ds_load_2addr_b32 v[0:1], v30 offset1:16
	ds_load_2addr_b32 v[8:9], v30 offset0:64 offset1:80
	ds_load_2addr_b32 v[27:28], v30 offset0:128 offset1:144
	s_waitcnt lgkmcnt(2)
	v_add_f32_e32 v0, v1, v0
	s_waitcnt lgkmcnt(0)
	v_dual_add_f32 v1, v9, v8 :: v_dual_add_f32 v8, v28, v27
	ds_store_2addr_stride64_b32 v30, v0, v1 offset1:1
	ds_store_b32 v30, v8 offset:512
.LBB0_72:
	s_or_b32 exec_lo, exec_lo, s3
	s_waitcnt lgkmcnt(0)
	s_barrier
	buffer_gl0_inv
	s_and_saveexec_b32 s4, vcc_lo
	s_cbranch_execz .LBB0_76
; %bb.73:
	v_add_nc_u32_e32 v8, 8, v32
	s_mov_b32 s5, 0
	s_delay_alu instid0(VALU_DEP_1)
	v_mad_i64_i32 v[0:1], null, v8, 12, v[24:25]
	global_load_b32 v9, v[0:1], off
	ds_load_b32 v8, v31 offset:1024
	ds_load_b32 v17, v33 offset:32
	s_waitcnt lgkmcnt(0)
	v_add_f32_e32 v17, v8, v17
.LBB0_74:                               ; =>This Inner Loop Header: Depth=1
	s_waitcnt vmcnt(0)
	s_delay_alu instid0(VALU_DEP_1) | instskip(SKIP_4) | instid1(VALU_DEP_2)
	v_add_f32_e32 v8, v9, v17
	global_atomic_cmpswap_b32 v8, v[0:1], v[8:9], off glc
	s_waitcnt vmcnt(0)
	v_cmp_eq_u32_e64 s3, v8, v9
	v_mov_b32_e32 v9, v8
	s_or_b32 s5, s3, s5
	s_delay_alu instid0(SALU_CYCLE_1)
	s_and_not1_b32 exec_lo, exec_lo, s5
	s_cbranch_execnz .LBB0_74
; %bb.75:
	s_or_b32 exec_lo, exec_lo, s5
	v_add_f32_e32 v0, v26, v17
	s_delay_alu instid0(VALU_DEP_1)
	v_cndmask_b32_e64 v26, v26, v0, s0
.LBB0_76:
	s_or_b32 exec_lo, exec_lo, s4
	s_barrier
	buffer_gl0_inv
	ds_store_2addr_stride64_b32 v30, v2, v10 offset1:1
	ds_store_b32 v30, v18 offset:512
	s_waitcnt lgkmcnt(0)
	s_barrier
	buffer_gl0_inv
	s_and_saveexec_b32 s3, s1
	s_cbranch_execz .LBB0_78
; %bb.77:
	ds_load_2addr_b32 v[0:1], v30 offset1:32
	ds_load_2addr_b32 v[8:9], v30 offset0:64 offset1:96
	ds_load_2addr_b32 v[17:18], v30 offset0:128 offset1:160
	s_waitcnt lgkmcnt(2)
	v_add_f32_e32 v0, v1, v0
	s_waitcnt lgkmcnt(0)
	v_dual_add_f32 v1, v9, v8 :: v_dual_add_f32 v2, v18, v17
	ds_store_2addr_stride64_b32 v30, v0, v1 offset1:1
	ds_store_b32 v30, v2 offset:512
.LBB0_78:
	s_or_b32 exec_lo, exec_lo, s3
	s_waitcnt lgkmcnt(0)
	s_barrier
	buffer_gl0_inv
	s_and_saveexec_b32 s3, s2
	s_cbranch_execz .LBB0_80
; %bb.79:
	ds_load_2addr_b32 v[0:1], v30 offset1:16
	ds_load_2addr_b32 v[8:9], v30 offset0:64 offset1:80
	ds_load_2addr_b32 v[17:18], v30 offset0:128 offset1:144
	s_waitcnt lgkmcnt(2)
	v_add_f32_e32 v0, v1, v0
	s_waitcnt lgkmcnt(0)
	v_dual_add_f32 v1, v9, v8 :: v_dual_add_f32 v2, v18, v17
	ds_store_2addr_stride64_b32 v30, v0, v1 offset1:1
	ds_store_b32 v30, v2 offset:512
.LBB0_80:
	s_or_b32 exec_lo, exec_lo, s3
	s_waitcnt lgkmcnt(0)
	s_barrier
	buffer_gl0_inv
	s_and_saveexec_b32 s4, vcc_lo
	s_cbranch_execz .LBB0_84
; %bb.81:
	v_add_nc_u32_e32 v2, 16, v32
	s_mov_b32 s5, 0
	s_delay_alu instid0(VALU_DEP_1)
	v_mad_i64_i32 v[0:1], null, v2, 12, v[24:25]
	global_load_b32 v9, v[0:1], off
	ds_load_b32 v2, v31 offset:1024
	ds_load_b32 v8, v33 offset:32
	s_waitcnt lgkmcnt(0)
	v_add_f32_e32 v2, v2, v8
.LBB0_82:                               ; =>This Inner Loop Header: Depth=1
	s_waitcnt vmcnt(0)
	s_delay_alu instid0(VALU_DEP_1) | instskip(SKIP_4) | instid1(VALU_DEP_2)
	v_add_f32_e32 v8, v9, v2
	global_atomic_cmpswap_b32 v8, v[0:1], v[8:9], off glc
	s_waitcnt vmcnt(0)
	v_cmp_eq_u32_e64 s3, v8, v9
	v_mov_b32_e32 v9, v8
	s_or_b32 s5, s3, s5
	s_delay_alu instid0(SALU_CYCLE_1)
	s_and_not1_b32 exec_lo, exec_lo, s5
	s_cbranch_execnz .LBB0_82
; %bb.83:
	s_or_b32 exec_lo, exec_lo, s5
	v_add_f32_e32 v0, v26, v2
	s_delay_alu instid0(VALU_DEP_1)
	v_cndmask_b32_e64 v26, v26, v0, s0
.LBB0_84:
	s_or_b32 exec_lo, exec_lo, s4
	s_barrier
	buffer_gl0_inv
	ds_store_2addr_stride64_b32 v30, v3, v11 offset1:1
	ds_store_b32 v30, v19 offset:512
	s_waitcnt lgkmcnt(0)
	s_barrier
	buffer_gl0_inv
	s_and_saveexec_b32 s3, s1
	s_cbranch_execz .LBB0_86
; %bb.85:
	ds_load_2addr_b32 v[0:1], v30 offset1:32
	ds_load_2addr_b32 v[2:3], v30 offset0:64 offset1:96
	ds_load_2addr_b32 v[8:9], v30 offset0:128 offset1:160
	s_waitcnt lgkmcnt(1)
	v_dual_add_f32 v0, v1, v0 :: v_dual_add_f32 v1, v3, v2
	s_waitcnt lgkmcnt(0)
	v_add_f32_e32 v2, v9, v8
	ds_store_2addr_stride64_b32 v30, v0, v1 offset1:1
	ds_store_b32 v30, v2 offset:512
.LBB0_86:
	s_or_b32 exec_lo, exec_lo, s3
	s_waitcnt lgkmcnt(0)
	s_barrier
	buffer_gl0_inv
	s_and_saveexec_b32 s3, s2
	s_cbranch_execz .LBB0_88
; %bb.87:
	ds_load_2addr_b32 v[0:1], v30 offset1:16
	ds_load_2addr_b32 v[2:3], v30 offset0:64 offset1:80
	ds_load_2addr_b32 v[8:9], v30 offset0:128 offset1:144
	s_waitcnt lgkmcnt(1)
	v_dual_add_f32 v0, v1, v0 :: v_dual_add_f32 v1, v3, v2
	s_waitcnt lgkmcnt(0)
	v_add_f32_e32 v2, v9, v8
	ds_store_2addr_stride64_b32 v30, v0, v1 offset1:1
	ds_store_b32 v30, v2 offset:512
.LBB0_88:
	s_or_b32 exec_lo, exec_lo, s3
	s_waitcnt lgkmcnt(0)
	s_barrier
	buffer_gl0_inv
	s_and_saveexec_b32 s4, vcc_lo
	s_cbranch_execz .LBB0_92
; %bb.89:
	v_add_nc_u32_e32 v2, 24, v32
	s_mov_b32 s5, 0
	s_delay_alu instid0(VALU_DEP_1)
	v_mad_i64_i32 v[0:1], null, v2, 12, v[24:25]
	global_load_b32 v3, v[0:1], off
	ds_load_b32 v2, v31 offset:1024
	ds_load_b32 v8, v33 offset:32
	s_waitcnt lgkmcnt(0)
	v_add_f32_e32 v8, v2, v8
.LBB0_90:                               ; =>This Inner Loop Header: Depth=1
	s_waitcnt vmcnt(0)
	s_delay_alu instid0(VALU_DEP_1) | instskip(SKIP_4) | instid1(VALU_DEP_2)
	v_add_f32_e32 v2, v3, v8
	global_atomic_cmpswap_b32 v2, v[0:1], v[2:3], off glc
	s_waitcnt vmcnt(0)
	v_cmp_eq_u32_e64 s3, v2, v3
	v_mov_b32_e32 v3, v2
	s_or_b32 s5, s3, s5
	s_delay_alu instid0(SALU_CYCLE_1)
	s_and_not1_b32 exec_lo, exec_lo, s5
	s_cbranch_execnz .LBB0_90
; %bb.91:
	s_or_b32 exec_lo, exec_lo, s5
	v_add_f32_e32 v0, v26, v8
	s_delay_alu instid0(VALU_DEP_1)
	v_cndmask_b32_e64 v26, v26, v0, s0
.LBB0_92:
	s_or_b32 exec_lo, exec_lo, s4
	s_barrier
	buffer_gl0_inv
	ds_store_2addr_stride64_b32 v30, v4, v12 offset1:1
	ds_store_b32 v30, v20 offset:512
	s_waitcnt lgkmcnt(0)
	s_barrier
	buffer_gl0_inv
	s_and_saveexec_b32 s3, s1
	s_cbranch_execz .LBB0_94
; %bb.93:
	ds_load_2addr_b32 v[0:1], v30 offset1:32
	ds_load_2addr_b32 v[2:3], v30 offset0:64 offset1:96
	ds_load_2addr_b32 v[8:9], v30 offset0:128 offset1:160
	s_waitcnt lgkmcnt(1)
	v_dual_add_f32 v0, v1, v0 :: v_dual_add_f32 v1, v3, v2
	s_waitcnt lgkmcnt(0)
	v_add_f32_e32 v2, v9, v8
	ds_store_2addr_stride64_b32 v30, v0, v1 offset1:1
	ds_store_b32 v30, v2 offset:512
.LBB0_94:
	s_or_b32 exec_lo, exec_lo, s3
	s_waitcnt lgkmcnt(0)
	s_barrier
	buffer_gl0_inv
	s_and_saveexec_b32 s3, s2
	s_cbranch_execz .LBB0_96
; %bb.95:
	ds_load_2addr_b32 v[0:1], v30 offset1:16
	ds_load_2addr_b32 v[2:3], v30 offset0:64 offset1:80
	ds_load_2addr_b32 v[8:9], v30 offset0:128 offset1:144
	s_waitcnt lgkmcnt(1)
	v_dual_add_f32 v0, v1, v0 :: v_dual_add_f32 v1, v3, v2
	s_waitcnt lgkmcnt(0)
	v_add_f32_e32 v2, v9, v8
	ds_store_2addr_stride64_b32 v30, v0, v1 offset1:1
	ds_store_b32 v30, v2 offset:512
.LBB0_96:
	s_or_b32 exec_lo, exec_lo, s3
	s_waitcnt lgkmcnt(0)
	s_barrier
	buffer_gl0_inv
	s_and_saveexec_b32 s4, vcc_lo
	s_cbranch_execz .LBB0_100
; %bb.97:
	v_add_nc_u32_e32 v2, 32, v32
	s_mov_b32 s5, 0
	s_delay_alu instid0(VALU_DEP_1)
	v_mad_i64_i32 v[0:1], null, v2, 12, v[24:25]
	global_load_b32 v3, v[0:1], off
	ds_load_b32 v2, v31 offset:1024
	ds_load_b32 v4, v33 offset:32
	s_waitcnt lgkmcnt(0)
	v_add_f32_e32 v4, v2, v4
.LBB0_98:                               ; =>This Inner Loop Header: Depth=1
	s_waitcnt vmcnt(0)
	s_delay_alu instid0(VALU_DEP_1) | instskip(SKIP_4) | instid1(VALU_DEP_2)
	v_add_f32_e32 v2, v3, v4
	global_atomic_cmpswap_b32 v2, v[0:1], v[2:3], off glc
	s_waitcnt vmcnt(0)
	v_cmp_eq_u32_e64 s3, v2, v3
	v_mov_b32_e32 v3, v2
	s_or_b32 s5, s3, s5
	s_delay_alu instid0(SALU_CYCLE_1)
	s_and_not1_b32 exec_lo, exec_lo, s5
	s_cbranch_execnz .LBB0_98
; %bb.99:
	s_or_b32 exec_lo, exec_lo, s5
	v_add_f32_e32 v0, v26, v4
	s_delay_alu instid0(VALU_DEP_1)
	v_cndmask_b32_e64 v26, v26, v0, s0
.LBB0_100:
	s_or_b32 exec_lo, exec_lo, s4
	s_barrier
	buffer_gl0_inv
	ds_store_2addr_stride64_b32 v30, v5, v13 offset1:1
	ds_store_b32 v30, v21 offset:512
	s_waitcnt lgkmcnt(0)
	s_barrier
	buffer_gl0_inv
	s_and_saveexec_b32 s3, s1
	s_cbranch_execz .LBB0_102
; %bb.101:
	ds_load_2addr_b32 v[0:1], v30 offset1:32
	ds_load_2addr_b32 v[2:3], v30 offset0:64 offset1:96
	ds_load_2addr_b32 v[4:5], v30 offset0:128 offset1:160
	s_waitcnt lgkmcnt(1)
	v_dual_add_f32 v0, v1, v0 :: v_dual_add_f32 v1, v3, v2
	s_waitcnt lgkmcnt(0)
	v_add_f32_e32 v2, v5, v4
	ds_store_2addr_stride64_b32 v30, v0, v1 offset1:1
	ds_store_b32 v30, v2 offset:512
.LBB0_102:
	s_or_b32 exec_lo, exec_lo, s3
	s_waitcnt lgkmcnt(0)
	s_barrier
	buffer_gl0_inv
	s_and_saveexec_b32 s3, s2
	s_cbranch_execz .LBB0_104
; %bb.103:
	ds_load_2addr_b32 v[0:1], v30 offset1:16
	ds_load_2addr_b32 v[2:3], v30 offset0:64 offset1:80
	ds_load_2addr_b32 v[4:5], v30 offset0:128 offset1:144
	s_waitcnt lgkmcnt(1)
	v_dual_add_f32 v0, v1, v0 :: v_dual_add_f32 v1, v3, v2
	s_waitcnt lgkmcnt(0)
	v_add_f32_e32 v2, v5, v4
	ds_store_2addr_stride64_b32 v30, v0, v1 offset1:1
	ds_store_b32 v30, v2 offset:512
.LBB0_104:
	s_or_b32 exec_lo, exec_lo, s3
	s_waitcnt lgkmcnt(0)
	s_barrier
	buffer_gl0_inv
	s_and_saveexec_b32 s4, vcc_lo
	s_cbranch_execz .LBB0_108
; %bb.105:
	v_add_nc_u32_e32 v2, 40, v32
	s_mov_b32 s5, 0
	s_delay_alu instid0(VALU_DEP_1)
	v_mad_i64_i32 v[0:1], null, v2, 12, v[24:25]
	global_load_b32 v3, v[0:1], off
	ds_load_b32 v2, v31 offset:1024
	ds_load_b32 v4, v33 offset:32
	s_waitcnt lgkmcnt(0)
	v_add_f32_e32 v4, v2, v4
.LBB0_106:                              ; =>This Inner Loop Header: Depth=1
	s_waitcnt vmcnt(0)
	s_delay_alu instid0(VALU_DEP_1) | instskip(SKIP_4) | instid1(VALU_DEP_2)
	v_add_f32_e32 v2, v3, v4
	global_atomic_cmpswap_b32 v2, v[0:1], v[2:3], off glc
	s_waitcnt vmcnt(0)
	v_cmp_eq_u32_e64 s3, v2, v3
	v_mov_b32_e32 v3, v2
	s_or_b32 s5, s3, s5
	s_delay_alu instid0(SALU_CYCLE_1)
	s_and_not1_b32 exec_lo, exec_lo, s5
	s_cbranch_execnz .LBB0_106
; %bb.107:
	s_or_b32 exec_lo, exec_lo, s5
	v_add_f32_e32 v0, v26, v4
	s_delay_alu instid0(VALU_DEP_1)
	v_cndmask_b32_e64 v26, v26, v0, s0
.LBB0_108:
	s_or_b32 exec_lo, exec_lo, s4
	s_barrier
	buffer_gl0_inv
	ds_store_2addr_stride64_b32 v30, v6, v14 offset1:1
	ds_store_b32 v30, v22 offset:512
	s_waitcnt lgkmcnt(0)
	s_barrier
	buffer_gl0_inv
	s_and_saveexec_b32 s3, s1
	s_cbranch_execz .LBB0_110
; %bb.109:
	ds_load_2addr_b32 v[0:1], v30 offset1:32
	ds_load_2addr_b32 v[2:3], v30 offset0:64 offset1:96
	ds_load_2addr_b32 v[4:5], v30 offset0:128 offset1:160
	s_waitcnt lgkmcnt(1)
	v_dual_add_f32 v0, v1, v0 :: v_dual_add_f32 v1, v3, v2
	s_waitcnt lgkmcnt(0)
	v_add_f32_e32 v2, v5, v4
	ds_store_2addr_stride64_b32 v30, v0, v1 offset1:1
	ds_store_b32 v30, v2 offset:512
.LBB0_110:
	s_or_b32 exec_lo, exec_lo, s3
	s_waitcnt lgkmcnt(0)
	s_barrier
	buffer_gl0_inv
	s_and_saveexec_b32 s3, s2
	s_cbranch_execz .LBB0_112
; %bb.111:
	ds_load_2addr_b32 v[0:1], v30 offset1:16
	ds_load_2addr_b32 v[2:3], v30 offset0:64 offset1:80
	ds_load_2addr_b32 v[4:5], v30 offset0:128 offset1:144
	s_waitcnt lgkmcnt(1)
	v_dual_add_f32 v0, v1, v0 :: v_dual_add_f32 v1, v3, v2
	s_waitcnt lgkmcnt(0)
	v_add_f32_e32 v2, v5, v4
	ds_store_2addr_stride64_b32 v30, v0, v1 offset1:1
	ds_store_b32 v30, v2 offset:512
.LBB0_112:
	s_or_b32 exec_lo, exec_lo, s3
	s_waitcnt lgkmcnt(0)
	s_barrier
	buffer_gl0_inv
	s_and_saveexec_b32 s4, vcc_lo
	s_cbranch_execz .LBB0_116
; %bb.113:
	v_add_nc_u32_e32 v2, 48, v32
	s_mov_b32 s5, 0
	s_delay_alu instid0(VALU_DEP_1)
	v_mad_i64_i32 v[0:1], null, v2, 12, v[24:25]
	global_load_b32 v3, v[0:1], off
	ds_load_b32 v2, v31 offset:1024
	ds_load_b32 v4, v33 offset:32
	s_waitcnt lgkmcnt(0)
	v_add_f32_e32 v4, v2, v4
.LBB0_114:                              ; =>This Inner Loop Header: Depth=1
	s_waitcnt vmcnt(0)
	s_delay_alu instid0(VALU_DEP_1) | instskip(SKIP_4) | instid1(VALU_DEP_2)
	v_add_f32_e32 v2, v3, v4
	global_atomic_cmpswap_b32 v2, v[0:1], v[2:3], off glc
	s_waitcnt vmcnt(0)
	v_cmp_eq_u32_e64 s3, v2, v3
	v_mov_b32_e32 v3, v2
	s_or_b32 s5, s3, s5
	s_delay_alu instid0(SALU_CYCLE_1)
	s_and_not1_b32 exec_lo, exec_lo, s5
	s_cbranch_execnz .LBB0_114
; %bb.115:
	s_or_b32 exec_lo, exec_lo, s5
	v_add_f32_e32 v0, v26, v4
	s_delay_alu instid0(VALU_DEP_1)
	v_cndmask_b32_e64 v26, v26, v0, s0
.LBB0_116:
	s_or_b32 exec_lo, exec_lo, s4
	s_barrier
	buffer_gl0_inv
	ds_store_2addr_stride64_b32 v30, v7, v15 offset1:1
	ds_store_b32 v30, v23 offset:512
	s_waitcnt lgkmcnt(0)
	s_barrier
	buffer_gl0_inv
	s_and_saveexec_b32 s3, s1
	s_cbranch_execz .LBB0_118
; %bb.117:
	ds_load_2addr_b32 v[0:1], v30 offset1:32
	ds_load_2addr_b32 v[2:3], v30 offset0:64 offset1:96
	ds_load_2addr_b32 v[4:5], v30 offset0:128 offset1:160
	s_waitcnt lgkmcnt(1)
	v_dual_add_f32 v0, v1, v0 :: v_dual_add_f32 v1, v3, v2
	s_waitcnt lgkmcnt(0)
	v_add_f32_e32 v2, v5, v4
	ds_store_2addr_stride64_b32 v30, v0, v1 offset1:1
	ds_store_b32 v30, v2 offset:512
.LBB0_118:
	s_or_b32 exec_lo, exec_lo, s3
	s_waitcnt lgkmcnt(0)
	s_barrier
	buffer_gl0_inv
	s_and_saveexec_b32 s1, s2
	s_cbranch_execz .LBB0_120
; %bb.119:
	ds_load_2addr_b32 v[0:1], v30 offset1:16
	ds_load_2addr_b32 v[2:3], v30 offset0:64 offset1:80
	ds_load_2addr_b32 v[4:5], v30 offset0:128 offset1:144
	s_waitcnt lgkmcnt(1)
	v_dual_add_f32 v0, v1, v0 :: v_dual_add_f32 v1, v3, v2
	s_waitcnt lgkmcnt(0)
	v_add_f32_e32 v2, v5, v4
	ds_store_2addr_stride64_b32 v30, v0, v1 offset1:1
	ds_store_b32 v30, v2 offset:512
.LBB0_120:
	s_or_b32 exec_lo, exec_lo, s1
	s_waitcnt lgkmcnt(0)
	s_barrier
	buffer_gl0_inv
	s_and_saveexec_b32 s2, vcc_lo
	s_cbranch_execz .LBB0_124
; %bb.121:
	v_add_nc_u32_e32 v2, 56, v32
	s_mov_b32 s3, 0
	s_delay_alu instid0(VALU_DEP_1)
	v_mad_i64_i32 v[0:1], null, v2, 12, v[24:25]
	global_load_b32 v3, v[0:1], off
	ds_load_b32 v2, v31 offset:1024
	ds_load_b32 v4, v33 offset:32
	s_waitcnt lgkmcnt(0)
	v_add_f32_e32 v4, v2, v4
.LBB0_122:                              ; =>This Inner Loop Header: Depth=1
	s_waitcnt vmcnt(0)
	s_delay_alu instid0(VALU_DEP_1) | instskip(SKIP_4) | instid1(VALU_DEP_2)
	v_add_f32_e32 v2, v3, v4
	global_atomic_cmpswap_b32 v2, v[0:1], v[2:3], off glc
	s_waitcnt vmcnt(0)
	v_cmp_eq_u32_e64 s1, v2, v3
	v_mov_b32_e32 v3, v2
	s_or_b32 s3, s1, s3
	s_delay_alu instid0(SALU_CYCLE_1)
	s_and_not1_b32 exec_lo, exec_lo, s3
	s_cbranch_execnz .LBB0_122
; %bb.123:
	s_or_b32 exec_lo, exec_lo, s3
	v_add_f32_e32 v0, v26, v4
	s_delay_alu instid0(VALU_DEP_1)
	v_cndmask_b32_e64 v26, v26, v0, s0
.LBB0_124:
	s_or_b32 exec_lo, exec_lo, s2
	s_and_b32 s0, vcc_lo, s0
	s_barrier
	buffer_gl0_inv
	s_and_saveexec_b32 s1, s0
	s_cbranch_execz .LBB0_127
; %bb.125:
	s_add_u32 s0, s14, s34
	s_addc_u32 s1, s15, s33
	global_load_b32 v3, v16, s[0:1]
	v_add_co_u32 v0, s0, s0, v16
	s_delay_alu instid0(VALU_DEP_1)
	v_add_co_ci_u32_e64 v1, null, s1, 0, s0
	s_mov_b32 s0, 0
.LBB0_126:                              ; =>This Inner Loop Header: Depth=1
	s_waitcnt vmcnt(0)
	v_add_f32_e32 v2, v3, v26
	global_atomic_cmpswap_b32 v2, v[0:1], v[2:3], off glc
	s_waitcnt vmcnt(0)
	v_cmp_eq_u32_e32 vcc_lo, v2, v3
	v_mov_b32_e32 v3, v2
	s_or_b32 s0, vcc_lo, s0
	s_delay_alu instid0(SALU_CYCLE_1)
	s_and_not1_b32 exec_lo, exec_lo, s0
	s_cbranch_execnz .LBB0_126
.LBB0_127:
	s_endpgm
	.section	.rodata,"a",@progbits
	.p2align	6, 0x0
	.amdhsa_kernel _Z15nbnxmKernelTestPK15HIP_vector_typeIfLj4EEPN3gmx11BasicVectorIfEES6_S6_P11nbnxn_cj4_tPK9nbnxn_sciPK12nbnxn_excl_tPKiPKS_IfLj2EEifffb
		.amdhsa_group_segment_fixed_size 2048
		.amdhsa_private_segment_fixed_size 0
		.amdhsa_kernarg_size 92
		.amdhsa_user_sgpr_count 14
		.amdhsa_user_sgpr_dispatch_ptr 0
		.amdhsa_user_sgpr_queue_ptr 0
		.amdhsa_user_sgpr_kernarg_segment_ptr 1
		.amdhsa_user_sgpr_dispatch_id 0
		.amdhsa_user_sgpr_private_segment_size 0
		.amdhsa_wavefront_size32 1
		.amdhsa_uses_dynamic_stack 0
		.amdhsa_enable_private_segment 0
		.amdhsa_system_sgpr_workgroup_id_x 1
		.amdhsa_system_sgpr_workgroup_id_y 0
		.amdhsa_system_sgpr_workgroup_id_z 1
		.amdhsa_system_sgpr_workgroup_info 0
		.amdhsa_system_vgpr_workitem_id 1
		.amdhsa_next_free_vgpr 69
		.amdhsa_next_free_sgpr 51
		.amdhsa_reserve_vcc 1
		.amdhsa_float_round_mode_32 0
		.amdhsa_float_round_mode_16_64 0
		.amdhsa_float_denorm_mode_32 3
		.amdhsa_float_denorm_mode_16_64 3
		.amdhsa_dx10_clamp 1
		.amdhsa_ieee_mode 1
		.amdhsa_fp16_overflow 0
		.amdhsa_workgroup_processor_mode 1
		.amdhsa_memory_ordered 1
		.amdhsa_forward_progress 0
		.amdhsa_shared_vgpr_count 0
		.amdhsa_exception_fp_ieee_invalid_op 0
		.amdhsa_exception_fp_denorm_src 0
		.amdhsa_exception_fp_ieee_div_zero 0
		.amdhsa_exception_fp_ieee_overflow 0
		.amdhsa_exception_fp_ieee_underflow 0
		.amdhsa_exception_fp_ieee_inexact 0
		.amdhsa_exception_int_div_zero 0
	.end_amdhsa_kernel
	.text
.Lfunc_end0:
	.size	_Z15nbnxmKernelTestPK15HIP_vector_typeIfLj4EEPN3gmx11BasicVectorIfEES6_S6_P11nbnxn_cj4_tPK9nbnxn_sciPK12nbnxn_excl_tPKiPKS_IfLj2EEifffb, .Lfunc_end0-_Z15nbnxmKernelTestPK15HIP_vector_typeIfLj4EEPN3gmx11BasicVectorIfEES6_S6_P11nbnxn_cj4_tPK9nbnxn_sciPK12nbnxn_excl_tPKiPKS_IfLj2EEifffb
                                        ; -- End function
	.section	.AMDGPU.csdata,"",@progbits
; Kernel info:
; codeLenInByte = 8800
; NumSgprs: 53
; NumVgprs: 69
; ScratchSize: 0
; MemoryBound: 0
; FloatMode: 240
; IeeeMode: 1
; LDSByteSize: 2048 bytes/workgroup (compile time only)
; SGPRBlocks: 6
; VGPRBlocks: 8
; NumSGPRsForWavesPerEU: 53
; NumVGPRsForWavesPerEU: 69
; Occupancy: 16
; WaveLimiterHint : 1
; COMPUTE_PGM_RSRC2:SCRATCH_EN: 0
; COMPUTE_PGM_RSRC2:USER_SGPR: 14
; COMPUTE_PGM_RSRC2:TRAP_HANDLER: 0
; COMPUTE_PGM_RSRC2:TGID_X_EN: 1
; COMPUTE_PGM_RSRC2:TGID_Y_EN: 0
; COMPUTE_PGM_RSRC2:TGID_Z_EN: 1
; COMPUTE_PGM_RSRC2:TIDIG_COMP_CNT: 1
	.text
	.p2alignl 7, 3214868480
	.fill 96, 4, 3214868480
	.type	__hip_cuid_5e22afc14de77455,@object ; @__hip_cuid_5e22afc14de77455
	.section	.bss,"aw",@nobits
	.globl	__hip_cuid_5e22afc14de77455
__hip_cuid_5e22afc14de77455:
	.byte	0                               ; 0x0
	.size	__hip_cuid_5e22afc14de77455, 1

	.ident	"AMD clang version 19.0.0git (https://github.com/RadeonOpenCompute/llvm-project roc-6.4.0 25133 c7fe45cf4b819c5991fe208aaa96edf142730f1d)"
	.section	".note.GNU-stack","",@progbits
	.addrsig
	.addrsig_sym __hip_cuid_5e22afc14de77455
	.amdgpu_metadata
---
amdhsa.kernels:
  - .args:
      - .actual_access:  read_only
        .address_space:  global
        .offset:         0
        .size:           8
        .value_kind:     global_buffer
      - .address_space:  global
        .offset:         8
        .size:           8
        .value_kind:     global_buffer
      - .actual_access:  read_only
        .address_space:  global
        .offset:         16
        .size:           8
        .value_kind:     global_buffer
      - .address_space:  global
        .offset:         24
        .size:           8
        .value_kind:     global_buffer
      - .actual_access:  read_only
        .address_space:  global
        .offset:         32
        .size:           8
        .value_kind:     global_buffer
      - .actual_access:  read_only
        .address_space:  global
        .offset:         40
        .size:           8
        .value_kind:     global_buffer
      - .actual_access:  read_only
        .address_space:  global
        .offset:         48
        .size:           8
        .value_kind:     global_buffer
      - .actual_access:  read_only
        .address_space:  global
        .offset:         56
        .size:           8
        .value_kind:     global_buffer
      - .actual_access:  read_only
        .address_space:  global
        .offset:         64
        .size:           8
        .value_kind:     global_buffer
      - .offset:         72
        .size:           4
        .value_kind:     by_value
      - .offset:         76
        .size:           4
        .value_kind:     by_value
      - .offset:         80
        .size:           4
        .value_kind:     by_value
      - .offset:         84
        .size:           4
        .value_kind:     by_value
      - .offset:         88
        .size:           1
        .value_kind:     by_value
    .group_segment_fixed_size: 2048
    .kernarg_segment_align: 8
    .kernarg_segment_size: 92
    .language:       OpenCL C
    .language_version:
      - 2
      - 0
    .max_flat_workgroup_size: 1024
    .name:           _Z15nbnxmKernelTestPK15HIP_vector_typeIfLj4EEPN3gmx11BasicVectorIfEES6_S6_P11nbnxn_cj4_tPK9nbnxn_sciPK12nbnxn_excl_tPKiPKS_IfLj2EEifffb
    .private_segment_fixed_size: 0
    .sgpr_count:     53
    .sgpr_spill_count: 0
    .symbol:         _Z15nbnxmKernelTestPK15HIP_vector_typeIfLj4EEPN3gmx11BasicVectorIfEES6_S6_P11nbnxn_cj4_tPK9nbnxn_sciPK12nbnxn_excl_tPKiPKS_IfLj2EEifffb.kd
    .uniform_work_group_size: 1
    .uses_dynamic_stack: false
    .vgpr_count:     69
    .vgpr_spill_count: 0
    .wavefront_size: 32
    .workgroup_processor_mode: 1
amdhsa.target:   amdgcn-amd-amdhsa--gfx1100
amdhsa.version:
  - 1
  - 2
...

	.end_amdgpu_metadata
